;; amdgpu-corpus repo=zjin-lcf/HeCBench kind=compiled arch=gfx950 opt=O3
	.amdgcn_target "amdgcn-amd-amdhsa--gfx950"
	.amdhsa_code_object_version 6
	.text
	.protected	_Z10comm_emptyP15HIP_vector_typeIfLj2EES1_S1_ ; -- Begin function _Z10comm_emptyP15HIP_vector_typeIfLj2EES1_S1_
	.globl	_Z10comm_emptyP15HIP_vector_typeIfLj2EES1_S1_
	.p2align	8
	.type	_Z10comm_emptyP15HIP_vector_typeIfLj2EES1_S1_,@function
_Z10comm_emptyP15HIP_vector_typeIfLj2EES1_S1_: ; @_Z10comm_emptyP15HIP_vector_typeIfLj2EES1_S1_
; %bb.0:
	s_endpgm
	.section	.rodata,"a",@progbits
	.p2align	6, 0x0
	.amdhsa_kernel _Z10comm_emptyP15HIP_vector_typeIfLj2EES1_S1_
		.amdhsa_group_segment_fixed_size 0
		.amdhsa_private_segment_fixed_size 0
		.amdhsa_kernarg_size 24
		.amdhsa_user_sgpr_count 2
		.amdhsa_user_sgpr_dispatch_ptr 0
		.amdhsa_user_sgpr_queue_ptr 0
		.amdhsa_user_sgpr_kernarg_segment_ptr 1
		.amdhsa_user_sgpr_dispatch_id 0
		.amdhsa_user_sgpr_kernarg_preload_length 0
		.amdhsa_user_sgpr_kernarg_preload_offset 0
		.amdhsa_user_sgpr_private_segment_size 0
		.amdhsa_uses_dynamic_stack 0
		.amdhsa_enable_private_segment 0
		.amdhsa_system_sgpr_workgroup_id_x 1
		.amdhsa_system_sgpr_workgroup_id_y 0
		.amdhsa_system_sgpr_workgroup_id_z 0
		.amdhsa_system_sgpr_workgroup_info 0
		.amdhsa_system_vgpr_workitem_id 0
		.amdhsa_next_free_vgpr 1
		.amdhsa_next_free_sgpr 0
		.amdhsa_accum_offset 4
		.amdhsa_reserve_vcc 0
		.amdhsa_float_round_mode_32 0
		.amdhsa_float_round_mode_16_64 0
		.amdhsa_float_denorm_mode_32 3
		.amdhsa_float_denorm_mode_16_64 3
		.amdhsa_dx10_clamp 1
		.amdhsa_ieee_mode 1
		.amdhsa_fp16_overflow 0
		.amdhsa_tg_split 0
		.amdhsa_exception_fp_ieee_invalid_op 0
		.amdhsa_exception_fp_denorm_src 0
		.amdhsa_exception_fp_ieee_div_zero 0
		.amdhsa_exception_fp_ieee_overflow 0
		.amdhsa_exception_fp_ieee_underflow 0
		.amdhsa_exception_fp_ieee_inexact 0
		.amdhsa_exception_int_div_zero 0
	.end_amdhsa_kernel
	.text
.Lfunc_end0:
	.size	_Z10comm_emptyP15HIP_vector_typeIfLj2EES1_S1_, .Lfunc_end0-_Z10comm_emptyP15HIP_vector_typeIfLj2EES1_S1_
                                        ; -- End function
	.set _Z10comm_emptyP15HIP_vector_typeIfLj2EES1_S1_.num_vgpr, 0
	.set _Z10comm_emptyP15HIP_vector_typeIfLj2EES1_S1_.num_agpr, 0
	.set _Z10comm_emptyP15HIP_vector_typeIfLj2EES1_S1_.numbered_sgpr, 0
	.set _Z10comm_emptyP15HIP_vector_typeIfLj2EES1_S1_.num_named_barrier, 0
	.set _Z10comm_emptyP15HIP_vector_typeIfLj2EES1_S1_.private_seg_size, 0
	.set _Z10comm_emptyP15HIP_vector_typeIfLj2EES1_S1_.uses_vcc, 0
	.set _Z10comm_emptyP15HIP_vector_typeIfLj2EES1_S1_.uses_flat_scratch, 0
	.set _Z10comm_emptyP15HIP_vector_typeIfLj2EES1_S1_.has_dyn_sized_stack, 0
	.set _Z10comm_emptyP15HIP_vector_typeIfLj2EES1_S1_.has_recursion, 0
	.set _Z10comm_emptyP15HIP_vector_typeIfLj2EES1_S1_.has_indirect_call, 0
	.section	.AMDGPU.csdata,"",@progbits
; Kernel info:
; codeLenInByte = 4
; TotalNumSgprs: 6
; NumVgprs: 0
; NumAgprs: 0
; TotalNumVgprs: 0
; ScratchSize: 0
; MemoryBound: 0
; FloatMode: 240
; IeeeMode: 1
; LDSByteSize: 0 bytes/workgroup (compile time only)
; SGPRBlocks: 0
; VGPRBlocks: 0
; NumSGPRsForWavesPerEU: 6
; NumVGPRsForWavesPerEU: 1
; AccumOffset: 4
; Occupancy: 8
; WaveLimiterHint : 0
; COMPUTE_PGM_RSRC2:SCRATCH_EN: 0
; COMPUTE_PGM_RSRC2:USER_SGPR: 2
; COMPUTE_PGM_RSRC2:TRAP_HANDLER: 0
; COMPUTE_PGM_RSRC2:TGID_X_EN: 1
; COMPUTE_PGM_RSRC2:TGID_Y_EN: 0
; COMPUTE_PGM_RSRC2:TGID_Z_EN: 0
; COMPUTE_PGM_RSRC2:TIDIG_COMP_CNT: 0
; COMPUTE_PGM_RSRC3_GFX90A:ACCUM_OFFSET: 0
; COMPUTE_PGM_RSRC3_GFX90A:TG_SPLIT: 0
	.text
	.protected	_Z9comm_initPK15HIP_vector_typeIfLj2EEPS0_S2_i ; -- Begin function _Z9comm_initPK15HIP_vector_typeIfLj2EEPS0_S2_i
	.globl	_Z9comm_initPK15HIP_vector_typeIfLj2EEPS0_S2_i
	.p2align	8
	.type	_Z9comm_initPK15HIP_vector_typeIfLj2EEPS0_S2_i,@function
_Z9comm_initPK15HIP_vector_typeIfLj2EEPS0_S2_i: ; @_Z9comm_initPK15HIP_vector_typeIfLj2EEPS0_S2_i
; %bb.0:
	s_load_dword s8, s[0:1], 0x18
	s_waitcnt lgkmcnt(0)
	s_cmp_lt_i32 s8, 1
	s_cbranch_scc1 .LBB1_7
; %bb.1:
	v_sqrt_f32_e32 v1, 0
	s_load_dwordx4 s[4:7], s[0:1], 0x0
	s_load_dwordx2 s[10:11], s[0:1], 0x10
	s_load_dword s3, s[0:1], 0x2c
	s_mov_b32 s9, 0
	v_fmac_f32_e32 v1, 0, v1
	v_add_f32_e32 v1, v1, v1
	v_sub_f32_e32 v1, 0x40490fdb, v1
	v_div_scale_f32 v2, s[0:1], v1, v1, 1.0
	v_rcp_f32_e32 v3, v2
	s_waitcnt lgkmcnt(0)
	s_and_b32 s0, s3, 0xffff
	s_mul_i32 s2, s2, s0
	v_add_u32_e32 v0, s2, v0
	v_fma_f32 v4, -v2, v3, 1.0
	v_fmac_f32_e32 v3, v4, v3
	v_div_scale_f32 v4, vcc, 1.0, v1, 1.0
	v_mul_f32_e32 v5, v4, v3
	v_fma_f32 v6, -v2, v5, v4
	v_fmac_f32_e32 v5, v6, v3
	v_fma_f32 v2, -v2, v5, v4
	v_div_fmas_f32 v2, v2, v3, v5
	v_div_fixup_f32 v1, v2, v1, 1.0
	s_mov_b32 s2, 0x3a83126f
	v_div_scale_f32 v2, s[0:1], v1, v1, s2
	v_rcp_f32_e32 v3, v2
	v_mul_lo_u32 v8, v0, s8
	s_lshl_b64 s[0:1], s[8:9], 3
	v_mul_lo_u32 v9, v8, s8
	v_fma_f32 v0, -v2, v3, 1.0
	v_fmac_f32_e32 v3, v0, v3
	v_div_scale_f32 v0, vcc, s2, v1, s2
	v_mul_f32_e32 v4, v0, v3
	v_fma_f32 v5, -v2, v4, v0
	v_fmac_f32_e32 v4, v5, v3
	v_fma_f32 v0, -v2, v4, v0
	v_div_fmas_f32 v0, v0, v3, v4
	v_div_fixup_f32 v0, v0, v1, s2
	s_add_u32 s2, s10, 4
	v_mov_b32_e32 v1, v0
	s_addc_u32 s3, s11, 0
	v_mov_b32_e32 v10, v9
.LBB1_2:                                ; =>This Loop Header: Depth=1
                                        ;     Child Loop BB1_3 Depth 2
                                        ;       Child Loop BB1_4 Depth 3
	v_add_u32_e32 v2, s9, v8
	v_mul_lo_u32 v11, v2, s8
	s_mov_b64 s[12:13], s[10:11]
	v_mov_b32_e32 v12, v9
	s_mov_b32 s18, 0
.LBB1_3:                                ;   Parent Loop BB1_2 Depth=1
                                        ; =>  This Loop Header: Depth=2
                                        ;       Child Loop BB1_4 Depth 3
	v_mov_b32_e32 v2, 0
	s_mov_b32 s19, 0
	s_mov_b64 s[14:15], s[2:3]
	s_mov_b64 s[16:17], s[12:13]
	v_mov_b32_e32 v4, v12
	v_mov_b32_e32 v3, v2
.LBB1_4:                                ;   Parent Loop BB1_2 Depth=1
                                        ;     Parent Loop BB1_3 Depth=2
                                        ; =>    This Inner Loop Header: Depth=3
	v_add_u32_e32 v6, s19, v10
	v_ashrrev_i32_e32 v7, 31, v6
	v_ashrrev_i32_e32 v5, 31, v4
	v_lshl_add_u64 v[6:7], v[6:7], 3, s[4:5]
	v_lshl_add_u64 v[14:15], v[4:5], 3, s[4:5]
	global_load_dwordx2 v[16:17], v[6:7], off
	global_load_dwordx2 v[18:19], v[14:15], off
	s_add_u32 s20, s14, -4
	s_load_dwordx2 s[22:23], s[16:17], 0x0
	s_addc_u32 s21, s15, -1
	s_load_dwordx2 s[20:21], s[20:21], 0x0
	s_add_i32 s19, s19, 1
	s_add_u32 s16, s16, s0
	s_addc_u32 s17, s17, s1
	s_add_u32 s14, s14, 8
	s_addc_u32 s15, s15, 0
	v_add_u32_e32 v4, s8, v4
	s_cmp_eq_u32 s8, s19
	s_waitcnt vmcnt(1) lgkmcnt(0)
	v_pk_mul_f32 v[6:7], v[16:17], s[22:23] op_sel_hi:[0,1]
	v_pk_mul_f32 v[14:15], v[16:17], s[22:23] op_sel:[1,0]
	s_waitcnt vmcnt(0)
	v_pk_fma_f32 v[6:7], s[20:21], v[18:19], v[6:7] op_sel_hi:[0,1,1] neg_lo:[0,0,1] neg_hi:[0,0,1]
	v_pk_fma_f32 v[14:15], s[20:21], v[18:19], v[14:15] op_sel:[1,0,0] neg_lo:[0,0,1] neg_hi:[0,0,1]
	v_pk_add_f32 v[6:7], v[2:3], v[6:7] op_sel:[0,1] op_sel_hi:[1,0]
	s_nop 0
	v_pk_add_f32 v[2:3], v[6:7], v[14:15]
	v_pk_add_f32 v[6:7], v[6:7], v[14:15] neg_lo:[0,1] neg_hi:[0,1]
	s_nop 0
	v_mov_b32_e32 v3, v7
	s_cbranch_scc0 .LBB1_4
; %bb.5:                                ;   in Loop: Header=BB1_3 Depth=2
	v_add_u32_e32 v4, s18, v11
	v_ashrrev_i32_e32 v5, 31, v4
	v_lshl_add_u64 v[4:5], v[4:5], 3, s[6:7]
	global_load_dwordx2 v[14:15], v[4:5], off
	s_add_i32 s18, s18, 1
	v_mov_b32_e32 v3, v7
	s_add_u32 s12, s12, 8
	s_addc_u32 s13, s13, 0
	s_cmp_eq_u32 s18, s8
	v_add_u32_e32 v12, 1, v12
	s_waitcnt vmcnt(0)
	v_pk_fma_f32 v[6:7], v[0:1], v[2:3], v[14:15]
	v_pk_fma_f32 v[2:3], v[0:1], v[2:3], v[14:15] neg_lo:[1,0,0] neg_hi:[1,0,0]
	s_nop 0
	v_mov_b32_e32 v7, v3
	global_store_dwordx2 v[4:5], v[6:7], off
	s_cbranch_scc0 .LBB1_3
; %bb.6:                                ;   in Loop: Header=BB1_2 Depth=1
	s_add_i32 s9, s9, 1
	s_add_u32 s2, s2, s0
	s_addc_u32 s3, s3, s1
	s_cmp_eq_u32 s9, s8
	v_add_u32_e32 v10, s8, v10
	s_cbranch_scc0 .LBB1_2
.LBB1_7:
	s_endpgm
	.section	.rodata,"a",@progbits
	.p2align	6, 0x0
	.amdhsa_kernel _Z9comm_initPK15HIP_vector_typeIfLj2EEPS0_S2_i
		.amdhsa_group_segment_fixed_size 0
		.amdhsa_private_segment_fixed_size 0
		.amdhsa_kernarg_size 288
		.amdhsa_user_sgpr_count 2
		.amdhsa_user_sgpr_dispatch_ptr 0
		.amdhsa_user_sgpr_queue_ptr 0
		.amdhsa_user_sgpr_kernarg_segment_ptr 1
		.amdhsa_user_sgpr_dispatch_id 0
		.amdhsa_user_sgpr_kernarg_preload_length 0
		.amdhsa_user_sgpr_kernarg_preload_offset 0
		.amdhsa_user_sgpr_private_segment_size 0
		.amdhsa_uses_dynamic_stack 0
		.amdhsa_enable_private_segment 0
		.amdhsa_system_sgpr_workgroup_id_x 1
		.amdhsa_system_sgpr_workgroup_id_y 0
		.amdhsa_system_sgpr_workgroup_id_z 0
		.amdhsa_system_sgpr_workgroup_info 0
		.amdhsa_system_vgpr_workitem_id 0
		.amdhsa_next_free_vgpr 20
		.amdhsa_next_free_sgpr 24
		.amdhsa_accum_offset 20
		.amdhsa_reserve_vcc 1
		.amdhsa_float_round_mode_32 0
		.amdhsa_float_round_mode_16_64 0
		.amdhsa_float_denorm_mode_32 3
		.amdhsa_float_denorm_mode_16_64 3
		.amdhsa_dx10_clamp 1
		.amdhsa_ieee_mode 1
		.amdhsa_fp16_overflow 0
		.amdhsa_tg_split 0
		.amdhsa_exception_fp_ieee_invalid_op 0
		.amdhsa_exception_fp_denorm_src 0
		.amdhsa_exception_fp_ieee_div_zero 0
		.amdhsa_exception_fp_ieee_overflow 0
		.amdhsa_exception_fp_ieee_underflow 0
		.amdhsa_exception_fp_ieee_inexact 0
		.amdhsa_exception_int_div_zero 0
	.end_amdhsa_kernel
	.text
.Lfunc_end1:
	.size	_Z9comm_initPK15HIP_vector_typeIfLj2EEPS0_S2_i, .Lfunc_end1-_Z9comm_initPK15HIP_vector_typeIfLj2EEPS0_S2_i
                                        ; -- End function
	.set _Z9comm_initPK15HIP_vector_typeIfLj2EEPS0_S2_i.num_vgpr, 20
	.set _Z9comm_initPK15HIP_vector_typeIfLj2EEPS0_S2_i.num_agpr, 0
	.set _Z9comm_initPK15HIP_vector_typeIfLj2EEPS0_S2_i.numbered_sgpr, 24
	.set _Z9comm_initPK15HIP_vector_typeIfLj2EEPS0_S2_i.num_named_barrier, 0
	.set _Z9comm_initPK15HIP_vector_typeIfLj2EEPS0_S2_i.private_seg_size, 0
	.set _Z9comm_initPK15HIP_vector_typeIfLj2EEPS0_S2_i.uses_vcc, 1
	.set _Z9comm_initPK15HIP_vector_typeIfLj2EEPS0_S2_i.uses_flat_scratch, 0
	.set _Z9comm_initPK15HIP_vector_typeIfLj2EEPS0_S2_i.has_dyn_sized_stack, 0
	.set _Z9comm_initPK15HIP_vector_typeIfLj2EEPS0_S2_i.has_recursion, 0
	.set _Z9comm_initPK15HIP_vector_typeIfLj2EEPS0_S2_i.has_indirect_call, 0
	.section	.AMDGPU.csdata,"",@progbits
; Kernel info:
; codeLenInByte = 616
; TotalNumSgprs: 30
; NumVgprs: 20
; NumAgprs: 0
; TotalNumVgprs: 20
; ScratchSize: 0
; MemoryBound: 0
; FloatMode: 240
; IeeeMode: 1
; LDSByteSize: 0 bytes/workgroup (compile time only)
; SGPRBlocks: 3
; VGPRBlocks: 2
; NumSGPRsForWavesPerEU: 30
; NumVGPRsForWavesPerEU: 20
; AccumOffset: 20
; Occupancy: 8
; WaveLimiterHint : 0
; COMPUTE_PGM_RSRC2:SCRATCH_EN: 0
; COMPUTE_PGM_RSRC2:USER_SGPR: 2
; COMPUTE_PGM_RSRC2:TRAP_HANDLER: 0
; COMPUTE_PGM_RSRC2:TGID_X_EN: 1
; COMPUTE_PGM_RSRC2:TGID_Y_EN: 0
; COMPUTE_PGM_RSRC2:TGID_Z_EN: 0
; COMPUTE_PGM_RSRC2:TIDIG_COMP_CNT: 0
; COMPUTE_PGM_RSRC3_GFX90A:ACCUM_OFFSET: 4
; COMPUTE_PGM_RSRC3_GFX90A:TG_SPLIT: 0
	.text
	.protected	_Z13comm_refactorPK15HIP_vector_typeIfLj2EEPS0_S2_i ; -- Begin function _Z13comm_refactorPK15HIP_vector_typeIfLj2EEPS0_S2_i
	.globl	_Z13comm_refactorPK15HIP_vector_typeIfLj2EEPS0_S2_i
	.p2align	8
	.type	_Z13comm_refactorPK15HIP_vector_typeIfLj2EEPS0_S2_i,@function
_Z13comm_refactorPK15HIP_vector_typeIfLj2EEPS0_S2_i: ; @_Z13comm_refactorPK15HIP_vector_typeIfLj2EEPS0_S2_i
; %bb.0:
	s_load_dword s26, s[0:1], 0x18
	s_waitcnt lgkmcnt(0)
	s_cmp_lt_i32 s26, 1
	s_cbranch_scc1 .LBB2_7
; %bb.1:
	v_sqrt_f32_e32 v1, 0
	s_load_dword s3, s[0:1], 0x2c
	s_load_dwordx4 s[4:7], s[0:1], 0x0
	s_load_dwordx2 s[8:9], s[0:1], 0x10
	s_mov_b32 s29, 0
	v_fmac_f32_e32 v1, 0, v1
	v_add_f32_e32 v1, v1, v1
	v_sub_f32_e32 v1, 0x40490fdb, v1
	v_div_scale_f32 v2, s[0:1], v1, v1, 1.0
	v_rcp_f32_e32 v3, v2
	s_waitcnt lgkmcnt(0)
	s_and_b32 s3, s3, 0xffff
	s_mul_i32 s2, s2, s3
	s_mov_b32 s3, 0x3a83126f
	v_fma_f32 v4, -v2, v3, 1.0
	v_fmac_f32_e32 v3, v4, v3
	v_div_scale_f32 v4, vcc, 1.0, v1, 1.0
	v_mul_f32_e32 v5, v4, v3
	v_fma_f32 v6, -v2, v5, v4
	v_fmac_f32_e32 v5, v6, v3
	v_fma_f32 v2, -v2, v5, v4
	v_div_fmas_f32 v2, v2, v3, v5
	v_div_fixup_f32 v1, v2, v1, 1.0
	v_div_scale_f32 v2, s[0:1], v1, v1, s3
	v_rcp_f32_e32 v3, v2
	v_add_u32_e32 v0, s2, v0
	s_mul_i32 s2, s26, s26
	v_mul_lo_u32 v16, s2, v0
	v_fma_f32 v0, -v2, v3, 1.0
	v_fmac_f32_e32 v3, v0, v3
	v_div_scale_f32 v0, vcc, s3, v1, s3
	v_mul_f32_e32 v4, v0, v3
	v_fma_f32 v5, -v2, v4, v0
	v_fmac_f32_e32 v4, v5, v3
	v_fma_f32 v0, -v2, v4, v0
	s_mov_b32 s1, 0
	v_div_fmas_f32 v0, v0, v3, v4
	v_div_fixup_f32 v0, v0, v1, s3
	s_lshl_b32 s2, s26, 1
	s_mov_b32 s3, s1
	s_lshl_b64 s[10:11], s[2:3], 2
	s_ashr_i32 s3, s2, 31
	s_add_i32 s27, s2, 2
	s_lshl_b64 s[12:13], s[2:3], 2
	s_add_u32 s3, s8, 4
	s_addc_u32 s28, s9, 0
	v_lshlrev_b32_e32 v17, 1, v16
	s_add_u32 s14, s4, 4
	v_mov_b32_e32 v1, v0
	s_addc_u32 s15, s5, 0
	v_mov_b32_e32 v2, v17
	s_mov_b32 s16, s1
.LBB2_2:                                ; =>This Loop Header: Depth=1
                                        ;     Child Loop BB2_3 Depth 2
                                        ;       Child Loop BB2_4 Depth 3
	s_mov_b32 s17, s1
	s_lshl_b64 s[18:19], s[16:17], 2
	s_add_u32 s18, s3, s18
	v_ashrrev_i32_e32 v3, 31, v2
	s_mul_i32 s0, s29, s26
	s_addc_u32 s19, s28, s19
	v_lshl_add_u64 v[4:5], v[2:3], 2, s[14:15]
	v_add_u32_e32 v3, s0, v16
	v_mov_b32_e32 v6, v17
	s_mov_b64 s[20:21], s[8:9]
.LBB2_3:                                ;   Parent Loop BB2_2 Depth=1
                                        ; =>  This Loop Header: Depth=2
                                        ;       Child Loop BB2_4 Depth 3
	v_ashrrev_i32_e32 v7, 31, v6
	v_mov_b32_e32 v8, 0
	s_mov_b32 s0, 0
	v_lshl_add_u64 v[10:11], v[6:7], 2, s[4:5]
	v_mov_b64_e32 v[12:13], v[4:5]
	s_mov_b64 s[22:23], s[18:19]
	s_mov_b64 s[24:25], s[20:21]
	s_mov_b32 s30, s0
	v_mov_b32_e32 v9, v8
.LBB2_4:                                ;   Parent Loop BB2_2 Depth=1
                                        ;     Parent Loop BB2_3 Depth=2
                                        ; =>    This Inner Loop Header: Depth=3
	global_load_dwordx2 v[14:15], v[10:11], off
	global_load_dwordx2 v[18:19], v[12:13], off offset:-4
	s_add_u32 s34, s22, -4
	s_addc_u32 s35, s23, -1
	s_lshl_b64 s[38:39], s[0:1], 2
	s_load_dwordx2 s[40:41], s[34:35], 0x0
	s_add_u32 s34, s8, s38
	s_addc_u32 s35, s9, s39
	s_load_dword s37, s[24:25], 0x0
	s_load_dword s36, s[34:35], 0x4
	s_add_i32 s30, s30, 1
	s_add_i32 s0, s0, s27
	s_add_u32 s24, s24, s10
	s_waitcnt lgkmcnt(0)
	s_mov_b32 s34, s41
	s_addc_u32 s25, s25, s11
	s_add_u32 s22, s22, 8
	s_addc_u32 s23, s23, 0
	v_lshl_add_u64 v[10:11], v[10:11], 0, s[12:13]
	v_lshl_add_u64 v[12:13], v[12:13], 0, 8
	s_cmp_eq_u32 s26, s30
	s_waitcnt vmcnt(1)
	v_pk_fma_f32 v[8:9], s[40:41], v[14:15], v[8:9] op_sel:[0,1,0] op_sel_hi:[0,0,1]
	s_waitcnt vmcnt(0)
	v_pk_fma_f32 v[8:9], v[18:19], s[36:37], v[8:9] op_sel_hi:[0,1,1] neg_lo:[1,0,0] neg_hi:[1,0,0]
	v_pk_fma_f32 v[20:21], s[34:35], v[14:15], v[8:9]
	v_pk_fma_f32 v[8:9], s[40:41], v[14:15], v[8:9] op_sel:[1,0,0] neg_lo:[1,0,0] neg_hi:[1,0,0]
	s_nop 0
	v_mov_b32_e32 v21, v9
	v_pk_fma_f32 v[8:9], v[18:19], s[36:37], v[20:21] op_sel:[1,1,0] op_sel_hi:[1,0,1] neg_lo:[1,0,0] neg_hi:[1,0,0]
	v_pk_fma_f32 v[14:15], v[18:19], s[36:37], v[20:21] op_sel:[1,1,0] op_sel_hi:[1,0,1]
	s_nop 0
	v_mov_b32_e32 v9, v15
	s_cbranch_scc0 .LBB2_4
; %bb.5:                                ;   in Loop: Header=BB2_3 Depth=2
	v_add_lshl_u32 v10, v3, s17, 1
	v_ashrrev_i32_e32 v11, 31, v10
	v_lshl_add_u64 v[10:11], v[10:11], 2, s[6:7]
	global_load_dwordx2 v[12:13], v[10:11], off
	s_add_i32 s17, s17, 1
	v_mov_b32_e32 v9, v15
	s_add_u32 s20, s20, 8
	s_addc_u32 s21, s21, 0
	s_cmp_eq_u32 s17, s26
	v_add_u32_e32 v6, 2, v6
	s_waitcnt vmcnt(0)
	v_pk_fma_f32 v[14:15], v[0:1], v[8:9], v[12:13]
	v_pk_fma_f32 v[8:9], v[0:1], v[8:9], v[12:13] neg_lo:[1,0,0] neg_hi:[1,0,0]
	s_nop 0
	v_mov_b32_e32 v15, v9
	global_store_dwordx2 v[10:11], v[14:15], off
	s_cbranch_scc0 .LBB2_3
; %bb.6:                                ;   in Loop: Header=BB2_2 Depth=1
	s_add_i32 s29, s29, 1
	s_add_i32 s16, s16, s2
	s_cmp_eq_u32 s29, s26
	v_add_u32_e32 v2, s2, v2
	s_cbranch_scc0 .LBB2_2
.LBB2_7:
	s_endpgm
	.section	.rodata,"a",@progbits
	.p2align	6, 0x0
	.amdhsa_kernel _Z13comm_refactorPK15HIP_vector_typeIfLj2EEPS0_S2_i
		.amdhsa_group_segment_fixed_size 0
		.amdhsa_private_segment_fixed_size 0
		.amdhsa_kernarg_size 288
		.amdhsa_user_sgpr_count 2
		.amdhsa_user_sgpr_dispatch_ptr 0
		.amdhsa_user_sgpr_queue_ptr 0
		.amdhsa_user_sgpr_kernarg_segment_ptr 1
		.amdhsa_user_sgpr_dispatch_id 0
		.amdhsa_user_sgpr_kernarg_preload_length 0
		.amdhsa_user_sgpr_kernarg_preload_offset 0
		.amdhsa_user_sgpr_private_segment_size 0
		.amdhsa_uses_dynamic_stack 0
		.amdhsa_enable_private_segment 0
		.amdhsa_system_sgpr_workgroup_id_x 1
		.amdhsa_system_sgpr_workgroup_id_y 0
		.amdhsa_system_sgpr_workgroup_id_z 0
		.amdhsa_system_sgpr_workgroup_info 0
		.amdhsa_system_vgpr_workitem_id 0
		.amdhsa_next_free_vgpr 22
		.amdhsa_next_free_sgpr 42
		.amdhsa_accum_offset 24
		.amdhsa_reserve_vcc 1
		.amdhsa_float_round_mode_32 0
		.amdhsa_float_round_mode_16_64 0
		.amdhsa_float_denorm_mode_32 3
		.amdhsa_float_denorm_mode_16_64 3
		.amdhsa_dx10_clamp 1
		.amdhsa_ieee_mode 1
		.amdhsa_fp16_overflow 0
		.amdhsa_tg_split 0
		.amdhsa_exception_fp_ieee_invalid_op 0
		.amdhsa_exception_fp_denorm_src 0
		.amdhsa_exception_fp_ieee_div_zero 0
		.amdhsa_exception_fp_ieee_overflow 0
		.amdhsa_exception_fp_ieee_underflow 0
		.amdhsa_exception_fp_ieee_inexact 0
		.amdhsa_exception_int_div_zero 0
	.end_amdhsa_kernel
	.text
.Lfunc_end2:
	.size	_Z13comm_refactorPK15HIP_vector_typeIfLj2EEPS0_S2_i, .Lfunc_end2-_Z13comm_refactorPK15HIP_vector_typeIfLj2EEPS0_S2_i
                                        ; -- End function
	.set _Z13comm_refactorPK15HIP_vector_typeIfLj2EEPS0_S2_i.num_vgpr, 22
	.set _Z13comm_refactorPK15HIP_vector_typeIfLj2EEPS0_S2_i.num_agpr, 0
	.set _Z13comm_refactorPK15HIP_vector_typeIfLj2EEPS0_S2_i.numbered_sgpr, 42
	.set _Z13comm_refactorPK15HIP_vector_typeIfLj2EEPS0_S2_i.num_named_barrier, 0
	.set _Z13comm_refactorPK15HIP_vector_typeIfLj2EEPS0_S2_i.private_seg_size, 0
	.set _Z13comm_refactorPK15HIP_vector_typeIfLj2EEPS0_S2_i.uses_vcc, 1
	.set _Z13comm_refactorPK15HIP_vector_typeIfLj2EEPS0_S2_i.uses_flat_scratch, 0
	.set _Z13comm_refactorPK15HIP_vector_typeIfLj2EEPS0_S2_i.has_dyn_sized_stack, 0
	.set _Z13comm_refactorPK15HIP_vector_typeIfLj2EEPS0_S2_i.has_recursion, 0
	.set _Z13comm_refactorPK15HIP_vector_typeIfLj2EEPS0_S2_i.has_indirect_call, 0
	.section	.AMDGPU.csdata,"",@progbits
; Kernel info:
; codeLenInByte = 700
; TotalNumSgprs: 48
; NumVgprs: 22
; NumAgprs: 0
; TotalNumVgprs: 22
; ScratchSize: 0
; MemoryBound: 0
; FloatMode: 240
; IeeeMode: 1
; LDSByteSize: 0 bytes/workgroup (compile time only)
; SGPRBlocks: 5
; VGPRBlocks: 2
; NumSGPRsForWavesPerEU: 48
; NumVGPRsForWavesPerEU: 22
; AccumOffset: 24
; Occupancy: 8
; WaveLimiterHint : 0
; COMPUTE_PGM_RSRC2:SCRATCH_EN: 0
; COMPUTE_PGM_RSRC2:USER_SGPR: 2
; COMPUTE_PGM_RSRC2:TRAP_HANDLER: 0
; COMPUTE_PGM_RSRC2:TGID_X_EN: 1
; COMPUTE_PGM_RSRC2:TGID_Y_EN: 0
; COMPUTE_PGM_RSRC2:TGID_Z_EN: 0
; COMPUTE_PGM_RSRC2:TIDIG_COMP_CNT: 0
; COMPUTE_PGM_RSRC3_GFX90A:ACCUM_OFFSET: 5
; COMPUTE_PGM_RSRC3_GFX90A:TG_SPLIT: 0
	.text
	.protected	_Z26comm_refactor_direct_storePK15HIP_vector_typeIfLj2EEPS0_S2_i ; -- Begin function _Z26comm_refactor_direct_storePK15HIP_vector_typeIfLj2EEPS0_S2_i
	.globl	_Z26comm_refactor_direct_storePK15HIP_vector_typeIfLj2EEPS0_S2_i
	.p2align	8
	.type	_Z26comm_refactor_direct_storePK15HIP_vector_typeIfLj2EEPS0_S2_i,@function
_Z26comm_refactor_direct_storePK15HIP_vector_typeIfLj2EEPS0_S2_i: ; @_Z26comm_refactor_direct_storePK15HIP_vector_typeIfLj2EEPS0_S2_i
; %bb.0:
	s_load_dword s26, s[0:1], 0x18
	s_waitcnt lgkmcnt(0)
	s_cmp_lt_i32 s26, 1
	s_cbranch_scc1 .LBB3_7
; %bb.1:
	s_load_dword s3, s[0:1], 0x2c
	s_load_dwordx4 s[4:7], s[0:1], 0x0
	s_load_dwordx2 s[8:9], s[0:1], 0x10
	s_mul_i32 s1, s26, s26
	s_lshl_b32 s0, s26, 1
	s_waitcnt lgkmcnt(0)
	s_and_b32 s3, s3, 0xffff
	s_mul_i32 s2, s2, s3
	v_add_u32_e32 v0, s2, v0
	s_mov_b32 s3, 0
	v_mul_lo_u32 v14, s1, v0
	s_mov_b32 s1, s3
	s_lshl_b64 s[10:11], s[0:1], 2
	s_ashr_i32 s1, s0, 31
	s_add_i32 s27, s0, 2
	s_lshl_b64 s[12:13], s[0:1], 2
	s_add_u32 s1, s8, 4
	s_addc_u32 s28, s9, 0
	v_lshlrev_b32_e32 v15, 1, v14
	s_add_u32 s14, s4, 4
	s_addc_u32 s15, s5, 0
	v_mov_b32_e32 v0, v15
	s_mov_b32 s16, s3
	s_mov_b32 s29, 0
.LBB3_2:                                ; =>This Loop Header: Depth=1
                                        ;     Child Loop BB3_3 Depth 2
                                        ;       Child Loop BB3_4 Depth 3
	s_mov_b32 s17, s3
	s_lshl_b64 s[18:19], s[16:17], 2
	s_add_u32 s18, s1, s18
	v_ashrrev_i32_e32 v1, 31, v0
	s_mul_i32 s2, s29, s26
	s_addc_u32 s19, s28, s19
	v_lshl_add_u64 v[2:3], v[0:1], 2, s[14:15]
	v_add_u32_e32 v1, s2, v14
	v_mov_b32_e32 v4, v15
	s_mov_b64 s[20:21], s[8:9]
.LBB3_3:                                ;   Parent Loop BB3_2 Depth=1
                                        ; =>  This Loop Header: Depth=2
                                        ;       Child Loop BB3_4 Depth 3
	v_add_lshl_u32 v6, s17, v1, 1
	v_ashrrev_i32_e32 v7, 31, v6
	v_lshl_add_u64 v[6:7], v[6:7], 2, s[6:7]
	global_load_dwordx2 v[10:11], v[6:7], off
	v_ashrrev_i32_e32 v5, 31, v4
	s_mov_b32 s2, 0
	v_lshl_add_u64 v[8:9], v[4:5], 2, s[4:5]
	v_mov_b64_e32 v[12:13], v[2:3]
	s_mov_b64 s[22:23], s[18:19]
	s_mov_b64 s[24:25], s[20:21]
	s_mov_b32 s30, s2
.LBB3_4:                                ;   Parent Loop BB3_2 Depth=1
                                        ;     Parent Loop BB3_3 Depth=2
                                        ; =>    This Inner Loop Header: Depth=3
	global_load_dwordx2 v[16:17], v[8:9], off
	global_load_dwordx2 v[18:19], v[12:13], off offset:-4
	s_add_u32 s34, s22, -4
	s_addc_u32 s35, s23, -1
	s_lshl_b64 s[38:39], s[2:3], 2
	s_load_dwordx2 s[40:41], s[34:35], 0x0
	s_add_u32 s34, s8, s38
	s_addc_u32 s35, s9, s39
	s_load_dword s37, s[24:25], 0x0
	s_load_dword s36, s[34:35], 0x4
	s_add_i32 s30, s30, 1
	s_add_i32 s2, s2, s27
	s_add_u32 s24, s24, s10
	s_addc_u32 s25, s25, s11
	s_add_u32 s22, s22, 8
	s_addc_u32 s23, s23, 0
	v_lshl_add_u64 v[8:9], v[8:9], 0, s[12:13]
	v_lshl_add_u64 v[12:13], v[12:13], 0, 8
	s_cmp_eq_u32 s26, s30
	s_waitcnt vmcnt(1) lgkmcnt(0)
	v_pk_fma_f32 v[20:21], s[40:41], v[16:17], v[10:11] op_sel:[0,1,0] op_sel_hi:[0,0,1]
	v_pk_fma_f32 v[10:11], s[40:41], v[16:17], v[10:11] op_sel:[0,1,0] op_sel_hi:[0,0,1] neg_lo:[1,0,0] neg_hi:[1,0,0]
	s_waitcnt vmcnt(0)
	v_pk_fma_f32 v[20:21], v[18:19], s[36:37], v[20:21] op_sel_hi:[0,1,1] neg_lo:[1,0,0] neg_hi:[1,0,0]
	v_pk_fma_f32 v[10:11], v[18:19], s[36:37], v[10:11] op_sel_hi:[0,1,1]
	v_mov_b32_e32 v21, v11
	v_pk_fma_f32 v[10:11], v[16:17], s[40:41], v[20:21] op_sel:[0,1,0]
	s_nop 0
	v_pk_fma_f32 v[10:11], s[36:37], v[18:19], v[10:11] op_sel:[1,1,0] op_sel_hi:[0,1,1] neg_lo:[1,0,0] neg_hi:[1,0,0]
	s_cbranch_scc0 .LBB3_4
; %bb.5:                                ;   in Loop: Header=BB3_3 Depth=2
	s_add_i32 s17, s17, 1
	s_add_u32 s20, s20, 8
	s_addc_u32 s21, s21, 0
	s_cmp_eq_u32 s17, s26
	v_add_u32_e32 v4, 2, v4
	global_store_dwordx2 v[6:7], v[10:11], off
	s_cbranch_scc0 .LBB3_3
; %bb.6:                                ;   in Loop: Header=BB3_2 Depth=1
	s_add_i32 s29, s29, 1
	s_add_i32 s16, s16, s0
	s_cmp_eq_u32 s29, s26
	v_add_u32_e32 v0, s0, v0
	s_cbranch_scc0 .LBB3_2
.LBB3_7:
	s_endpgm
	.section	.rodata,"a",@progbits
	.p2align	6, 0x0
	.amdhsa_kernel _Z26comm_refactor_direct_storePK15HIP_vector_typeIfLj2EEPS0_S2_i
		.amdhsa_group_segment_fixed_size 0
		.amdhsa_private_segment_fixed_size 0
		.amdhsa_kernarg_size 288
		.amdhsa_user_sgpr_count 2
		.amdhsa_user_sgpr_dispatch_ptr 0
		.amdhsa_user_sgpr_queue_ptr 0
		.amdhsa_user_sgpr_kernarg_segment_ptr 1
		.amdhsa_user_sgpr_dispatch_id 0
		.amdhsa_user_sgpr_kernarg_preload_length 0
		.amdhsa_user_sgpr_kernarg_preload_offset 0
		.amdhsa_user_sgpr_private_segment_size 0
		.amdhsa_uses_dynamic_stack 0
		.amdhsa_enable_private_segment 0
		.amdhsa_system_sgpr_workgroup_id_x 1
		.amdhsa_system_sgpr_workgroup_id_y 0
		.amdhsa_system_sgpr_workgroup_id_z 0
		.amdhsa_system_sgpr_workgroup_info 0
		.amdhsa_system_vgpr_workitem_id 0
		.amdhsa_next_free_vgpr 22
		.amdhsa_next_free_sgpr 42
		.amdhsa_accum_offset 24
		.amdhsa_reserve_vcc 0
		.amdhsa_float_round_mode_32 0
		.amdhsa_float_round_mode_16_64 0
		.amdhsa_float_denorm_mode_32 3
		.amdhsa_float_denorm_mode_16_64 3
		.amdhsa_dx10_clamp 1
		.amdhsa_ieee_mode 1
		.amdhsa_fp16_overflow 0
		.amdhsa_tg_split 0
		.amdhsa_exception_fp_ieee_invalid_op 0
		.amdhsa_exception_fp_denorm_src 0
		.amdhsa_exception_fp_ieee_div_zero 0
		.amdhsa_exception_fp_ieee_overflow 0
		.amdhsa_exception_fp_ieee_underflow 0
		.amdhsa_exception_fp_ieee_inexact 0
		.amdhsa_exception_int_div_zero 0
	.end_amdhsa_kernel
	.text
.Lfunc_end3:
	.size	_Z26comm_refactor_direct_storePK15HIP_vector_typeIfLj2EEPS0_S2_i, .Lfunc_end3-_Z26comm_refactor_direct_storePK15HIP_vector_typeIfLj2EEPS0_S2_i
                                        ; -- End function
	.set _Z26comm_refactor_direct_storePK15HIP_vector_typeIfLj2EEPS0_S2_i.num_vgpr, 22
	.set _Z26comm_refactor_direct_storePK15HIP_vector_typeIfLj2EEPS0_S2_i.num_agpr, 0
	.set _Z26comm_refactor_direct_storePK15HIP_vector_typeIfLj2EEPS0_S2_i.numbered_sgpr, 42
	.set _Z26comm_refactor_direct_storePK15HIP_vector_typeIfLj2EEPS0_S2_i.num_named_barrier, 0
	.set _Z26comm_refactor_direct_storePK15HIP_vector_typeIfLj2EEPS0_S2_i.private_seg_size, 0
	.set _Z26comm_refactor_direct_storePK15HIP_vector_typeIfLj2EEPS0_S2_i.uses_vcc, 0
	.set _Z26comm_refactor_direct_storePK15HIP_vector_typeIfLj2EEPS0_S2_i.uses_flat_scratch, 0
	.set _Z26comm_refactor_direct_storePK15HIP_vector_typeIfLj2EEPS0_S2_i.has_dyn_sized_stack, 0
	.set _Z26comm_refactor_direct_storePK15HIP_vector_typeIfLj2EEPS0_S2_i.has_recursion, 0
	.set _Z26comm_refactor_direct_storePK15HIP_vector_typeIfLj2EEPS0_S2_i.has_indirect_call, 0
	.section	.AMDGPU.csdata,"",@progbits
; Kernel info:
; codeLenInByte = 468
; TotalNumSgprs: 48
; NumVgprs: 22
; NumAgprs: 0
; TotalNumVgprs: 22
; ScratchSize: 0
; MemoryBound: 0
; FloatMode: 240
; IeeeMode: 1
; LDSByteSize: 0 bytes/workgroup (compile time only)
; SGPRBlocks: 5
; VGPRBlocks: 2
; NumSGPRsForWavesPerEU: 48
; NumVGPRsForWavesPerEU: 22
; AccumOffset: 24
; Occupancy: 8
; WaveLimiterHint : 0
; COMPUTE_PGM_RSRC2:SCRATCH_EN: 0
; COMPUTE_PGM_RSRC2:USER_SGPR: 2
; COMPUTE_PGM_RSRC2:TRAP_HANDLER: 0
; COMPUTE_PGM_RSRC2:TGID_X_EN: 1
; COMPUTE_PGM_RSRC2:TGID_Y_EN: 0
; COMPUTE_PGM_RSRC2:TGID_Z_EN: 0
; COMPUTE_PGM_RSRC2:TIDIG_COMP_CNT: 0
; COMPUTE_PGM_RSRC3_GFX90A:ACCUM_OFFSET: 5
; COMPUTE_PGM_RSRC3_GFX90A:TG_SPLIT: 0
	.text
	.protected	_Z16comm_aosoa_naivePK15HIP_vector_typeIfLj2EEPS0_S2_i ; -- Begin function _Z16comm_aosoa_naivePK15HIP_vector_typeIfLj2EEPS0_S2_i
	.globl	_Z16comm_aosoa_naivePK15HIP_vector_typeIfLj2EEPS0_S2_i
	.p2align	8
	.type	_Z16comm_aosoa_naivePK15HIP_vector_typeIfLj2EEPS0_S2_i,@function
_Z16comm_aosoa_naivePK15HIP_vector_typeIfLj2EEPS0_S2_i: ; @_Z16comm_aosoa_naivePK15HIP_vector_typeIfLj2EEPS0_S2_i
; %bb.0:
	s_load_dword s8, s[0:1], 0x18
	s_waitcnt lgkmcnt(0)
	s_cmp_lt_i32 s8, 1
	s_cbranch_scc1 .LBB4_7
; %bb.1:
	s_load_dword s3, s[0:1], 0x2c
	s_load_dwordx4 s[4:7], s[0:1], 0x0
	s_load_dwordx2 s[10:11], s[0:1], 0x10
	s_mul_i32 s22, s8, s8
	s_mov_b32 s1, 0
	s_waitcnt lgkmcnt(0)
	s_and_b32 s0, s3, 0xffff
	s_mul_i32 s2, s2, s0
	v_add_u32_e32 v2, s2, v0
	v_ashrrev_i32_e32 v0, 31, v2
	v_lshrrev_b32_e32 v0, 29, v0
	v_add_u32_e32 v0, v2, v0
	s_lshl_b32 s0, s22, 4
	v_ashrrev_i32_e32 v1, 3, v0
	v_and_b32_e32 v0, -8, v0
	v_sub_u32_e32 v3, v2, v0
	v_mul_lo_u32 v5, s0, v1
	s_mov_b32 s9, s1
	s_add_i32 s0, s0, -8
	s_lshl_b32 s23, s8, 4
	v_add_u32_e32 v4, 8, v3
	s_lshl_b64 s[2:3], s[8:9], 2
	v_mul_lo_u32 v6, v1, s0
	v_mov_b32_e32 v7, v2
	s_mov_b64 s[12:13], s[10:11]
	s_mov_b32 s9, s22
	s_mov_b32 s24, 0
.LBB4_2:                                ; =>This Loop Header: Depth=1
                                        ;     Child Loop BB4_3 Depth 2
                                        ;       Child Loop BB4_4 Depth 3
	s_mul_i32 s25, s24, s8
	v_mov_b32_e32 v8, v2
	s_mov_b64 s[14:15], s[10:11]
	s_mov_b32 s26, s22
	s_mov_b32 s27, s1
.LBB4_3:                                ;   Parent Loop BB4_2 Depth=1
                                        ; =>  This Loop Header: Depth=2
                                        ;       Child Loop BB4_4 Depth 3
	v_mov_b32_e32 v0, 0
	s_mov_b32 s28, 0
	v_mov_b32_e32 v9, v7
	s_mov_b64 s[16:17], s[12:13]
	v_mov_b32_e32 v10, v8
	s_mov_b64 s[18:19], s[14:15]
	s_mov_b32 s20, s26
	v_mov_b32_e32 v1, v0
.LBB4_4:                                ;   Parent Loop BB4_2 Depth=1
                                        ;     Parent Loop BB4_3 Depth=2
                                        ; =>    This Inner Loop Header: Depth=3
	v_add_u32_e32 v12, v6, v10
	v_ashrrev_i32_e32 v13, 31, v12
	v_add_u32_e32 v16, 8, v12
	v_add_u32_e32 v14, v6, v9
	v_lshl_add_u64 v[12:13], v[12:13], 2, s[4:5]
	v_ashrrev_i32_e32 v17, 31, v16
	v_ashrrev_i32_e32 v15, 31, v14
	global_load_dword v13, v[12:13], off
	v_lshl_add_u64 v[16:17], v[16:17], 2, s[4:5]
	v_add_u32_e32 v18, 8, v14
	v_lshl_add_u64 v[14:15], v[14:15], 2, s[4:5]
	global_load_dword v12, v[16:17], off
	global_load_dword v20, v[14:15], off
	v_ashrrev_i32_e32 v19, 31, v18
	v_lshl_add_u64 v[14:15], v[18:19], 2, s[4:5]
	global_load_dword v14, v[14:15], off
	s_add_i32 s0, s9, s28
	s_lshl_b64 s[36:37], s[0:1], 2
	s_add_u32 s36, s10, s36
	s_addc_u32 s37, s11, s37
	s_ashr_i32 s21, s20, 31
	s_load_dword s30, s[16:17], 0x0
	s_load_dword s35, s[18:19], 0x0
	;; [unrolled: 1-line block ×3, first 2 shown]
	s_lshl_b64 s[36:37], s[20:21], 2
	s_add_u32 s36, s10, s36
	s_addc_u32 s37, s11, s37
	s_load_dword s34, s[36:37], 0x0
	s_add_i32 s28, s28, 1
	s_add_i32 s20, s20, s8
	s_add_u32 s18, s18, s2
	s_addc_u32 s19, s19, s3
	s_add_u32 s16, s16, 4
	s_addc_u32 s17, s17, 0
	v_add_u32_e32 v10, s23, v10
	v_add_u32_e32 v9, 16, v9
	s_cmp_eq_u32 s8, s28
	s_waitcnt vmcnt(2) lgkmcnt(0)
	v_pk_fma_f32 v[16:17], s[30:31], v[12:13], v[0:1] op_sel_hi:[0,1,1] neg_lo:[1,0,0] neg_hi:[1,0,0]
	v_pk_fma_f32 v[0:1], s[30:31], v[12:13], v[0:1] op_sel_hi:[0,1,1]
	s_waitcnt vmcnt(1)
	v_pk_fma_f32 v[16:17], v[20:21], s[34:35], v[16:17] op_sel_hi:[0,1,1]
	v_pk_fma_f32 v[0:1], v[20:21], s[34:35], v[0:1] op_sel_hi:[0,1,1] neg_lo:[1,0,0] neg_hi:[1,0,0]
	v_mov_b32_e32 v1, v17
	v_pk_fma_f32 v[0:1], v[12:13], s[0:1], v[0:1] op_sel:[1,0,0] op_sel_hi:[0,0,1]
	s_waitcnt vmcnt(0)
	v_pk_fma_f32 v[0:1], s[34:35], v[14:15], v[0:1] op_sel:[1,0,0] op_sel_hi:[0,0,1] neg_lo:[1,0,0] neg_hi:[1,0,0]
	s_cbranch_scc0 .LBB4_4
; %bb.5:                                ;   in Loop: Header=BB4_3 Depth=2
	s_add_i32 s0, s27, s25
	v_lshl_add_u32 v9, s0, 4, v5
	v_add_u32_e32 v10, v9, v3
	v_ashrrev_i32_e32 v11, 31, v10
	v_add_u32_e32 v12, v4, v9
	v_lshl_add_u64 v[10:11], v[10:11], 2, s[6:7]
	v_ashrrev_i32_e32 v13, 31, v12
	v_lshl_add_u64 v[12:13], v[12:13], 2, s[6:7]
	global_load_dword v9, v[10:11], off
	global_load_dword v14, v[12:13], off
	s_add_i32 s27, s27, 1
	s_add_i32 s26, s26, 1
	s_add_u32 s14, s14, 4
	s_addc_u32 s15, s15, 0
	s_cmp_eq_u32 s27, s8
	v_add_u32_e32 v8, 16, v8
	s_waitcnt vmcnt(1)
	v_add_f32_e32 v0, v0, v9
	s_waitcnt vmcnt(0)
	v_add_f32_e32 v1, v1, v14
	global_store_dword v[10:11], v0, off
	global_store_dword v[12:13], v1, off
	s_cbranch_scc0 .LBB4_3
; %bb.6:                                ;   in Loop: Header=BB4_2 Depth=1
	s_add_i32 s24, s24, 1
	s_add_i32 s9, s9, s8
	s_add_u32 s12, s12, s2
	s_addc_u32 s13, s13, s3
	s_cmp_eq_u32 s24, s8
	v_add_u32_e32 v7, s23, v7
	s_cbranch_scc0 .LBB4_2
.LBB4_7:
	s_endpgm
	.section	.rodata,"a",@progbits
	.p2align	6, 0x0
	.amdhsa_kernel _Z16comm_aosoa_naivePK15HIP_vector_typeIfLj2EEPS0_S2_i
		.amdhsa_group_segment_fixed_size 0
		.amdhsa_private_segment_fixed_size 0
		.amdhsa_kernarg_size 288
		.amdhsa_user_sgpr_count 2
		.amdhsa_user_sgpr_dispatch_ptr 0
		.amdhsa_user_sgpr_queue_ptr 0
		.amdhsa_user_sgpr_kernarg_segment_ptr 1
		.amdhsa_user_sgpr_dispatch_id 0
		.amdhsa_user_sgpr_kernarg_preload_length 0
		.amdhsa_user_sgpr_kernarg_preload_offset 0
		.amdhsa_user_sgpr_private_segment_size 0
		.amdhsa_uses_dynamic_stack 0
		.amdhsa_enable_private_segment 0
		.amdhsa_system_sgpr_workgroup_id_x 1
		.amdhsa_system_sgpr_workgroup_id_y 0
		.amdhsa_system_sgpr_workgroup_id_z 0
		.amdhsa_system_sgpr_workgroup_info 0
		.amdhsa_system_vgpr_workitem_id 0
		.amdhsa_next_free_vgpr 22
		.amdhsa_next_free_sgpr 38
		.amdhsa_accum_offset 24
		.amdhsa_reserve_vcc 0
		.amdhsa_float_round_mode_32 0
		.amdhsa_float_round_mode_16_64 0
		.amdhsa_float_denorm_mode_32 3
		.amdhsa_float_denorm_mode_16_64 3
		.amdhsa_dx10_clamp 1
		.amdhsa_ieee_mode 1
		.amdhsa_fp16_overflow 0
		.amdhsa_tg_split 0
		.amdhsa_exception_fp_ieee_invalid_op 0
		.amdhsa_exception_fp_denorm_src 0
		.amdhsa_exception_fp_ieee_div_zero 0
		.amdhsa_exception_fp_ieee_overflow 0
		.amdhsa_exception_fp_ieee_underflow 0
		.amdhsa_exception_fp_ieee_inexact 0
		.amdhsa_exception_int_div_zero 0
	.end_amdhsa_kernel
	.text
.Lfunc_end4:
	.size	_Z16comm_aosoa_naivePK15HIP_vector_typeIfLj2EEPS0_S2_i, .Lfunc_end4-_Z16comm_aosoa_naivePK15HIP_vector_typeIfLj2EEPS0_S2_i
                                        ; -- End function
	.set _Z16comm_aosoa_naivePK15HIP_vector_typeIfLj2EEPS0_S2_i.num_vgpr, 22
	.set _Z16comm_aosoa_naivePK15HIP_vector_typeIfLj2EEPS0_S2_i.num_agpr, 0
	.set _Z16comm_aosoa_naivePK15HIP_vector_typeIfLj2EEPS0_S2_i.numbered_sgpr, 38
	.set _Z16comm_aosoa_naivePK15HIP_vector_typeIfLj2EEPS0_S2_i.num_named_barrier, 0
	.set _Z16comm_aosoa_naivePK15HIP_vector_typeIfLj2EEPS0_S2_i.private_seg_size, 0
	.set _Z16comm_aosoa_naivePK15HIP_vector_typeIfLj2EEPS0_S2_i.uses_vcc, 0
	.set _Z16comm_aosoa_naivePK15HIP_vector_typeIfLj2EEPS0_S2_i.uses_flat_scratch, 0
	.set _Z16comm_aosoa_naivePK15HIP_vector_typeIfLj2EEPS0_S2_i.has_dyn_sized_stack, 0
	.set _Z16comm_aosoa_naivePK15HIP_vector_typeIfLj2EEPS0_S2_i.has_recursion, 0
	.set _Z16comm_aosoa_naivePK15HIP_vector_typeIfLj2EEPS0_S2_i.has_indirect_call, 0
	.section	.AMDGPU.csdata,"",@progbits
; Kernel info:
; codeLenInByte = 620
; TotalNumSgprs: 44
; NumVgprs: 22
; NumAgprs: 0
; TotalNumVgprs: 22
; ScratchSize: 0
; MemoryBound: 0
; FloatMode: 240
; IeeeMode: 1
; LDSByteSize: 0 bytes/workgroup (compile time only)
; SGPRBlocks: 5
; VGPRBlocks: 2
; NumSGPRsForWavesPerEU: 44
; NumVGPRsForWavesPerEU: 22
; AccumOffset: 24
; Occupancy: 8
; WaveLimiterHint : 0
; COMPUTE_PGM_RSRC2:SCRATCH_EN: 0
; COMPUTE_PGM_RSRC2:USER_SGPR: 2
; COMPUTE_PGM_RSRC2:TRAP_HANDLER: 0
; COMPUTE_PGM_RSRC2:TGID_X_EN: 1
; COMPUTE_PGM_RSRC2:TGID_Y_EN: 0
; COMPUTE_PGM_RSRC2:TGID_Z_EN: 0
; COMPUTE_PGM_RSRC2:TIDIG_COMP_CNT: 0
; COMPUTE_PGM_RSRC3_GFX90A:ACCUM_OFFSET: 5
; COMPUTE_PGM_RSRC3_GFX90A:TG_SPLIT: 0
	.text
	.protected	_Z26comm_aosoa_naive_constantsPK15HIP_vector_typeIfLj2EEPS0_S2_i ; -- Begin function _Z26comm_aosoa_naive_constantsPK15HIP_vector_typeIfLj2EEPS0_S2_i
	.globl	_Z26comm_aosoa_naive_constantsPK15HIP_vector_typeIfLj2EEPS0_S2_i
	.p2align	8
	.type	_Z26comm_aosoa_naive_constantsPK15HIP_vector_typeIfLj2EEPS0_S2_i,@function
_Z26comm_aosoa_naive_constantsPK15HIP_vector_typeIfLj2EEPS0_S2_i: ; @_Z26comm_aosoa_naive_constantsPK15HIP_vector_typeIfLj2EEPS0_S2_i
; %bb.0:
	s_load_dword s3, s[0:1], 0x2c
	s_load_dwordx4 s[4:7], s[0:1], 0x0
	s_load_dwordx2 s[12:13], s[0:1], 0x10
	s_mov_b32 s17, 0
	s_mov_b32 s26, 0
	s_waitcnt lgkmcnt(0)
	s_and_b32 s0, s3, 0xffff
	s_mul_i32 s2, s2, s0
	v_add_u32_e32 v0, s2, v0
	v_ashrrev_i32_e32 v1, 31, v0
	v_lshrrev_b32_e32 v1, 29, v1
	v_add_u32_e32 v1, v0, v1
	v_ashrrev_i32_e32 v2, 3, v1
	s_movk_i32 s0, 0x310
	v_mul_lo_u32 v4, v2, s0
	v_and_b32_e32 v1, -8, v1
	s_movk_i32 s0, 0x308
	v_sub_u32_e32 v5, v0, v1
	v_mad_u64_u32 v[0:1], s[0:1], v2, s0, v[0:1]
	s_add_u32 s14, s12, 0x16c
	v_add_u32_e32 v6, 8, v5
	s_addc_u32 s15, s13, 0
	v_mov_b32_e32 v1, v0
.LBB5_1:                                ; =>This Loop Header: Depth=1
                                        ;     Child Loop BB5_2 Depth 2
	s_mul_i32 s16, s26, 7
	s_lshl_b64 s[0:1], s[16:17], 2
	s_add_u32 s22, s12, s0
	s_mul_i32 s0, s26, 0x70
	v_add_u32_e32 v7, s0, v4
	s_addc_u32 s23, s13, s1
	v_add_u32_e32 v8, v6, v7
	s_lshl_b32 s0, s16, 4
	v_add_u32_e32 v2, v7, v5
	v_ashrrev_i32_e32 v9, 31, v8
	v_add3_u32 v7, s0, 16, v4
	v_lshl_add_u64 v[16:17], v[8:9], 2, s[4:5]
	v_add_u32_e32 v8, v7, v5
	v_ashrrev_i32_e32 v9, 31, v8
	v_lshl_add_u64 v[18:19], v[8:9], 2, s[4:5]
	v_add_u32_e32 v8, v6, v7
	v_ashrrev_i32_e32 v9, 31, v8
	v_add3_u32 v7, s0, 32, v4
	v_lshl_add_u64 v[20:21], v[8:9], 2, s[4:5]
	v_add_u32_e32 v8, v7, v5
	v_ashrrev_i32_e32 v9, 31, v8
	v_lshl_add_u64 v[22:23], v[8:9], 2, s[4:5]
	v_add_u32_e32 v8, v6, v7
	v_ashrrev_i32_e32 v9, 31, v8
	v_add3_u32 v7, s0, 48, v4
	v_lshl_add_u64 v[24:25], v[8:9], 2, s[4:5]
	v_add_u32_e32 v8, v7, v5
	v_ashrrev_i32_e32 v9, 31, v8
	v_ashrrev_i32_e32 v3, 31, v2
	v_lshl_add_u64 v[26:27], v[8:9], 2, s[4:5]
	v_add_u32_e32 v8, v6, v7
	v_lshl_add_u64 v[2:3], v[2:3], 2, s[4:5]
	v_ashrrev_i32_e32 v9, 31, v8
	v_add3_u32 v15, s0, 64, v4
	v_lshl_add_u64 v[28:29], v[8:9], 2, s[4:5]
	global_load_dword v7, v[2:3], off
	global_load_dword v8, v[16:17], off
	;; [unrolled: 1-line block ×8, first 2 shown]
	v_add_u32_e32 v16, v6, v15
	s_add_i32 s1, s0, 0x50
	v_add_u32_e32 v2, v15, v5
	v_ashrrev_i32_e32 v17, 31, v16
	v_add_u32_e32 v15, s1, v4
	v_lshl_add_u64 v[22:23], v[16:17], 2, s[4:5]
	v_add_u32_e32 v16, v15, v5
	v_ashrrev_i32_e32 v17, 31, v16
	v_lshl_add_u64 v[24:25], v[16:17], 2, s[4:5]
	v_add_u32_e32 v16, v6, v15
	s_addk_i32 s0, 0x60
	v_ashrrev_i32_e32 v17, 31, v16
	v_add_u32_e32 v15, s0, v4
	v_lshl_add_u64 v[26:27], v[16:17], 2, s[4:5]
	v_add_u32_e32 v16, v15, v5
	v_ashrrev_i32_e32 v17, 31, v16
	v_ashrrev_i32_e32 v3, 31, v2
	v_lshl_add_u64 v[28:29], v[16:17], 2, s[4:5]
	v_add_u32_e32 v16, v6, v15
	v_lshl_add_u64 v[2:3], v[2:3], 2, s[4:5]
	v_ashrrev_i32_e32 v17, 31, v16
	v_lshl_add_u64 v[30:31], v[16:17], 2, s[4:5]
	global_load_dword v15, v[2:3], off
	global_load_dword v16, v[22:23], off
	;; [unrolled: 1-line block ×6, first 2 shown]
	s_load_dwordx4 s[0:3], s[22:23], 0x0
	s_load_dwordx2 s[18:19], s[22:23], 0x10
	s_load_dword s16, s[22:23], 0x18
	s_load_dwordx4 s[8:11], s[22:23], 0xc4
	s_load_dwordx2 s[20:21], s[22:23], 0xd4
	s_load_dword s27, s[22:23], 0xdc
	s_mov_b64 s[22:23], s[14:15]
	s_mov_b32 s28, 0
.LBB5_2:                                ;   Parent Loop BB5_1 Depth=1
                                        ; =>  This Inner Loop Header: Depth=2
	v_add_u32_e32 v2, s28, v0
	v_ashrrev_i32_e32 v3, 31, v2
	v_lshl_add_u64 v[52:53], v[2:3], 2, s[4:5]
	global_load_dword v21, v[52:53], off
	v_add_u32_e32 v22, s28, v1
	v_add_u32_e32 v24, 8, v2
	s_add_u32 s24, s22, 0xfffffe94
	v_add_u32_e32 v26, 0x70, v2
	v_add_u32_e32 v28, 0x78, v2
	;; [unrolled: 1-line block ×12, first 2 shown]
	v_ashrrev_i32_e32 v23, 31, v22
	v_add_u32_e32 v50, 8, v22
	v_ashrrev_i32_e32 v25, 31, v24
	s_addc_u32 s25, s23, -1
	v_ashrrev_i32_e32 v27, 31, v26
	v_ashrrev_i32_e32 v29, 31, v28
	;; [unrolled: 1-line block ×12, first 2 shown]
	v_lshl_add_u64 v[2:3], v[22:23], 2, s[6:7]
	v_ashrrev_i32_e32 v51, 31, v50
	v_lshl_add_u64 v[22:23], v[24:25], 2, s[4:5]
	s_load_dword s29, s[22:23], 0x0
	s_load_dword s30, s[24:25], 0x0
	v_lshl_add_u64 v[24:25], v[26:27], 2, s[4:5]
	v_lshl_add_u64 v[26:27], v[28:29], 2, s[4:5]
	;; [unrolled: 1-line block ×12, first 2 shown]
	global_load_dword v52, v[2:3], off
	v_lshl_add_u64 v[48:49], v[50:51], 2, s[6:7]
	global_load_dword v50, v[22:23], off
	global_load_dword v51, v[24:25], off
	;; [unrolled: 1-line block ×9, first 2 shown]
	s_add_u32 s24, s22, 0xffffff58
	s_addc_u32 s25, s23, -1
	s_load_dword s31, s[24:25], 0x0
	global_load_dword v22, v[40:41], off
	global_load_dword v23, v[42:43], off
	;; [unrolled: 1-line block ×5, first 2 shown]
	s_add_u32 s24, s22, 0xfffffeb0
	s_addc_u32 s25, s23, -1
	s_load_dword s33, s[24:25], 0x0
	s_add_u32 s24, s22, 0xffffff74
	s_addc_u32 s25, s23, -1
	s_load_dword s34, s[24:25], 0x0
	;; [unrolled: 3-line block ×8, first 2 shown]
	s_waitcnt vmcnt(15) lgkmcnt(0)
	v_fma_f32 v27, -s0, v21, 0
	v_fmac_f32_e32 v27, s30, v7
	s_add_u32 s24, s22, 0xffffff20
	s_addc_u32 s25, s23, -1
	s_load_dword s41, s[24:25], 0x0
	s_add_u32 s24, s22, 0xffffffe4
	s_addc_u32 s25, s23, -1
	s_load_dword s42, s[24:25], 0x0
	;; [unrolled: 3-line block ×3, first 2 shown]
	s_add_i32 s28, s28, 16
	s_add_u32 s22, s22, 4
	s_addc_u32 s23, s23, 0
	s_cmpk_lg_i32 s28, 0x70
	s_waitcnt vmcnt(13)
	v_fma_f32 v28, s0, v50, 0
	v_fmac_f32_e32 v27, s8, v50
	v_fma_f32 v28, -v7, s31, v28
	v_fma_f32 v27, -v8, s31, v27
	v_fmac_f32_e32 v28, s8, v21
	v_fma_f32 v21, -s30, v8, v28
	s_waitcnt vmcnt(12)
	v_fma_f32 v27, -s1, v51, v27
	v_fmac_f32_e32 v27, s33, v9
	s_waitcnt vmcnt(11)
	v_fmac_f32_e32 v21, s1, v53
	v_fmac_f32_e32 v27, s9, v53
	v_fma_f32 v21, -v9, s34, v21
	v_fma_f32 v27, -v10, s34, v27
	v_fmac_f32_e32 v21, s9, v51
	v_fma_f32 v21, -s33, v10, v21
	s_waitcnt vmcnt(10)
	v_fma_f32 v27, -s2, v54, v27
	v_fmac_f32_e32 v27, s35, v11
	s_waitcnt vmcnt(9)
	v_fmac_f32_e32 v21, s2, v55
	;; [unrolled: 10-line block ×4, first 2 shown]
	v_fmac_f32_e32 v27, s20, v59
	v_fma_f32 v21, -v15, s40, v21
	v_fma_f32 v27, -v16, s40, v27
	v_fmac_f32_e32 v21, s20, v58
	v_fma_f32 v21, -s39, v16, v21
	s_waitcnt vmcnt(4)
	v_fma_f32 v27, -s19, v22, v27
	s_waitcnt lgkmcnt(0)
	v_fmac_f32_e32 v27, s41, v17
	s_waitcnt vmcnt(3)
	v_fmac_f32_e32 v21, s19, v23
	v_fmac_f32_e32 v27, s21, v23
	v_fma_f32 v21, -v17, s42, v21
	v_fma_f32 v23, -v18, s42, v27
	v_fmac_f32_e32 v21, s21, v22
	v_fma_f32 v21, -s41, v18, v21
	s_waitcnt vmcnt(2)
	v_fma_f32 v22, -s16, v24, v23
	v_fmac_f32_e32 v22, s24, v19
	s_waitcnt vmcnt(1)
	v_fmac_f32_e32 v21, s16, v25
	v_fmac_f32_e32 v22, s27, v25
	v_fma_f32 v21, -v19, s29, v21
	v_fma_f32 v22, -v20, s29, v22
	v_fmac_f32_e32 v21, s27, v24
	v_fma_f32 v21, -s24, v20, v21
	s_waitcnt vmcnt(0)
	v_add_f32_e32 v22, v22, v26
	v_add_f32_e32 v21, v21, v52
	global_store_dword v[48:49], v22, off
	global_store_dword v[2:3], v21, off
	s_cbranch_scc1 .LBB5_2
; %bb.3:                                ;   in Loop: Header=BB5_1 Depth=1
	s_add_i32 s26, s26, 1
	s_cmp_eq_u32 s26, 7
	v_add_u32_e32 v1, 0x70, v1
	s_cbranch_scc0 .LBB5_1
; %bb.4:
	s_endpgm
	.section	.rodata,"a",@progbits
	.p2align	6, 0x0
	.amdhsa_kernel _Z26comm_aosoa_naive_constantsPK15HIP_vector_typeIfLj2EEPS0_S2_i
		.amdhsa_group_segment_fixed_size 0
		.amdhsa_private_segment_fixed_size 0
		.amdhsa_kernarg_size 288
		.amdhsa_user_sgpr_count 2
		.amdhsa_user_sgpr_dispatch_ptr 0
		.amdhsa_user_sgpr_queue_ptr 0
		.amdhsa_user_sgpr_kernarg_segment_ptr 1
		.amdhsa_user_sgpr_dispatch_id 0
		.amdhsa_user_sgpr_kernarg_preload_length 0
		.amdhsa_user_sgpr_kernarg_preload_offset 0
		.amdhsa_user_sgpr_private_segment_size 0
		.amdhsa_uses_dynamic_stack 0
		.amdhsa_enable_private_segment 0
		.amdhsa_system_sgpr_workgroup_id_x 1
		.amdhsa_system_sgpr_workgroup_id_y 0
		.amdhsa_system_sgpr_workgroup_id_z 0
		.amdhsa_system_sgpr_workgroup_info 0
		.amdhsa_system_vgpr_workitem_id 0
		.amdhsa_next_free_vgpr 60
		.amdhsa_next_free_sgpr 43
		.amdhsa_accum_offset 60
		.amdhsa_reserve_vcc 0
		.amdhsa_float_round_mode_32 0
		.amdhsa_float_round_mode_16_64 0
		.amdhsa_float_denorm_mode_32 3
		.amdhsa_float_denorm_mode_16_64 3
		.amdhsa_dx10_clamp 1
		.amdhsa_ieee_mode 1
		.amdhsa_fp16_overflow 0
		.amdhsa_tg_split 0
		.amdhsa_exception_fp_ieee_invalid_op 0
		.amdhsa_exception_fp_denorm_src 0
		.amdhsa_exception_fp_ieee_div_zero 0
		.amdhsa_exception_fp_ieee_overflow 0
		.amdhsa_exception_fp_ieee_underflow 0
		.amdhsa_exception_fp_ieee_inexact 0
		.amdhsa_exception_int_div_zero 0
	.end_amdhsa_kernel
	.text
.Lfunc_end5:
	.size	_Z26comm_aosoa_naive_constantsPK15HIP_vector_typeIfLj2EEPS0_S2_i, .Lfunc_end5-_Z26comm_aosoa_naive_constantsPK15HIP_vector_typeIfLj2EEPS0_S2_i
                                        ; -- End function
	.set _Z26comm_aosoa_naive_constantsPK15HIP_vector_typeIfLj2EEPS0_S2_i.num_vgpr, 60
	.set _Z26comm_aosoa_naive_constantsPK15HIP_vector_typeIfLj2EEPS0_S2_i.num_agpr, 0
	.set _Z26comm_aosoa_naive_constantsPK15HIP_vector_typeIfLj2EEPS0_S2_i.numbered_sgpr, 43
	.set _Z26comm_aosoa_naive_constantsPK15HIP_vector_typeIfLj2EEPS0_S2_i.num_named_barrier, 0
	.set _Z26comm_aosoa_naive_constantsPK15HIP_vector_typeIfLj2EEPS0_S2_i.private_seg_size, 0
	.set _Z26comm_aosoa_naive_constantsPK15HIP_vector_typeIfLj2EEPS0_S2_i.uses_vcc, 0
	.set _Z26comm_aosoa_naive_constantsPK15HIP_vector_typeIfLj2EEPS0_S2_i.uses_flat_scratch, 0
	.set _Z26comm_aosoa_naive_constantsPK15HIP_vector_typeIfLj2EEPS0_S2_i.has_dyn_sized_stack, 0
	.set _Z26comm_aosoa_naive_constantsPK15HIP_vector_typeIfLj2EEPS0_S2_i.has_recursion, 0
	.set _Z26comm_aosoa_naive_constantsPK15HIP_vector_typeIfLj2EEPS0_S2_i.has_indirect_call, 0
	.section	.AMDGPU.csdata,"",@progbits
; Kernel info:
; codeLenInByte = 1768
; TotalNumSgprs: 49
; NumVgprs: 60
; NumAgprs: 0
; TotalNumVgprs: 60
; ScratchSize: 0
; MemoryBound: 0
; FloatMode: 240
; IeeeMode: 1
; LDSByteSize: 0 bytes/workgroup (compile time only)
; SGPRBlocks: 6
; VGPRBlocks: 7
; NumSGPRsForWavesPerEU: 49
; NumVGPRsForWavesPerEU: 60
; AccumOffset: 60
; Occupancy: 8
; WaveLimiterHint : 0
; COMPUTE_PGM_RSRC2:SCRATCH_EN: 0
; COMPUTE_PGM_RSRC2:USER_SGPR: 2
; COMPUTE_PGM_RSRC2:TRAP_HANDLER: 0
; COMPUTE_PGM_RSRC2:TGID_X_EN: 1
; COMPUTE_PGM_RSRC2:TGID_Y_EN: 0
; COMPUTE_PGM_RSRC2:TGID_Z_EN: 0
; COMPUTE_PGM_RSRC2:TIDIG_COMP_CNT: 0
; COMPUTE_PGM_RSRC3_GFX90A:ACCUM_OFFSET: 14
; COMPUTE_PGM_RSRC3_GFX90A:TG_SPLIT: 0
	.text
	.protected	_Z31comm_aosoa_naive_constants_permPK15HIP_vector_typeIfLj2EEPS0_S2_ ; -- Begin function _Z31comm_aosoa_naive_constants_permPK15HIP_vector_typeIfLj2EEPS0_S2_
	.globl	_Z31comm_aosoa_naive_constants_permPK15HIP_vector_typeIfLj2EEPS0_S2_
	.p2align	8
	.type	_Z31comm_aosoa_naive_constants_permPK15HIP_vector_typeIfLj2EEPS0_S2_,@function
_Z31comm_aosoa_naive_constants_permPK15HIP_vector_typeIfLj2EEPS0_S2_: ; @_Z31comm_aosoa_naive_constants_permPK15HIP_vector_typeIfLj2EEPS0_S2_
; %bb.0:
	s_load_dword s3, s[0:1], 0x24
	s_load_dwordx4 s[4:7], s[0:1], 0x0
	s_load_dwordx2 s[12:13], s[0:1], 0x10
	s_mov_b32 s24, 0
	s_mov_b64 s[14:15], 0xc4
	s_waitcnt lgkmcnt(0)
	s_and_b32 s0, s3, 0xffff
	s_mul_i32 s2, s2, s0
	v_add_u32_e32 v30, s2, v0
	v_ashrrev_i32_e32 v0, 31, v30
	v_lshrrev_b32_e32 v0, 29, v0
	v_add_u32_e32 v0, v30, v0
	v_ashrrev_i32_e32 v1, 3, v0
	s_movk_i32 s0, 0x310
	v_and_b32_e32 v0, -8, v0
	v_mul_lo_u32 v31, v1, s0
	v_sub_u32_e32 v32, v30, v0
	s_movk_i32 s0, 0x308
	v_add_u32_e32 v33, 8, v32
	v_mul_lo_u32 v34, v1, s0
	v_mov_b32_e32 v35, v30
.LBB6_1:                                ; =>This Loop Header: Depth=1
                                        ;     Child Loop BB6_2 Depth 2
	s_mul_i32 s0, s24, 0x70
	v_add_u32_e32 v24, s0, v31
	v_add_u32_e32 v6, 16, v24
	;; [unrolled: 1-line block ×21, first 2 shown]
	v_ashrrev_i32_e32 v1, 31, v0
	v_ashrrev_i32_e32 v3, 31, v2
	;; [unrolled: 1-line block ×14, first 2 shown]
	v_lshl_add_u64 v[0:1], v[0:1], 2, s[6:7]
	v_lshl_add_u64 v[2:3], v[2:3], 2, s[6:7]
	v_lshl_add_u64 v[4:5], v[4:5], 2, s[6:7]
	v_lshl_add_u64 v[6:7], v[6:7], 2, s[6:7]
	v_lshl_add_u64 v[8:9], v[8:9], 2, s[6:7]
	v_lshl_add_u64 v[10:11], v[10:11], 2, s[6:7]
	v_lshl_add_u64 v[12:13], v[12:13], 2, s[6:7]
	v_lshl_add_u64 v[14:15], v[14:15], 2, s[6:7]
	v_lshl_add_u64 v[16:17], v[16:17], 2, s[6:7]
	v_lshl_add_u64 v[18:19], v[18:19], 2, s[6:7]
	v_lshl_add_u64 v[20:21], v[20:21], 2, s[6:7]
	v_lshl_add_u64 v[22:23], v[22:23], 2, s[6:7]
	v_lshl_add_u64 v[24:25], v[24:25], 2, s[6:7]
	v_lshl_add_u64 v[26:27], v[26:27], 2, s[6:7]
	s_mov_b64 s[16:17], 0
	v_mov_b32_e32 v36, v35
	v_mov_b32_e32 v37, v30
	s_mov_b64 s[18:19], s[14:15]
.LBB6_2:                                ;   Parent Loop BB6_1 Depth=1
                                        ; =>  This Inner Loop Header: Depth=2
	v_add_u32_e32 v38, v34, v36
	v_add_u32_e32 v28, v34, v37
	v_ashrrev_i32_e32 v39, 31, v38
	v_add_u32_e32 v40, 8, v38
	v_add_u32_e32 v42, 8, v28
	global_load_dword v54, v[0:1], off
	global_load_dword v55, v[2:3], off
	v_ashrrev_i32_e32 v29, 31, v28
	v_lshl_add_u64 v[44:45], v[38:39], 2, s[4:5]
	v_ashrrev_i32_e32 v41, 31, v40
	v_ashrrev_i32_e32 v43, 31, v42
	v_lshl_add_u64 v[46:47], v[28:29], 2, s[4:5]
	v_lshl_add_u64 v[40:41], v[40:41], 2, s[4:5]
	;; [unrolled: 1-line block ×3, first 2 shown]
	global_load_dword v38, v[44:45], off
	global_load_dword v39, v[46:47], off
	;; [unrolled: 1-line block ×4, first 2 shown]
	s_add_u32 s0, s12, s18
	s_addc_u32 s1, s13, s19
	s_add_u32 s2, s0, 0xffffff3c
	v_add_u32_e32 v40, 16, v28
	s_addc_u32 s3, s1, -1
	v_add_u32_e32 v42, 24, v28
	v_add_u32_e32 v44, 32, v28
	;; [unrolled: 1-line block ×6, first 2 shown]
	v_ashrrev_i32_e32 v41, 31, v40
	s_add_u32 s22, s12, s16
	v_ashrrev_i32_e32 v43, 31, v42
	v_ashrrev_i32_e32 v45, 31, v44
	;; [unrolled: 1-line block ×6, first 2 shown]
	v_lshl_add_u64 v[40:41], v[40:41], 2, s[4:5]
	s_load_dword s26, s[2:3], 0x0
	s_load_dword s25, s[0:1], 0x0
	s_addc_u32 s23, s13, s17
	v_lshl_add_u64 v[42:43], v[42:43], 2, s[4:5]
	v_lshl_add_u64 v[44:45], v[44:45], 2, s[4:5]
	;; [unrolled: 1-line block ×6, first 2 shown]
	global_load_dword v57, v[40:41], off
	global_load_dword v58, v[42:43], off
	;; [unrolled: 1-line block ×7, first 2 shown]
	s_load_dwordx4 s[0:3], s[22:23], 0x0
	s_load_dword s27, s[22:23], 0x18
	s_load_dwordx4 s[8:11], s[22:23], 0xc4
	s_load_dwordx2 s[20:21], s[22:23], 0x10
	v_add_u32_e32 v44, 0x60, v28
	v_add_u32_e32 v46, 0x68, v28
	v_ashrrev_i32_e32 v45, 31, v44
	v_ashrrev_i32_e32 v47, 31, v46
	v_lshl_add_u64 v[44:45], v[44:45], 2, s[4:5]
	v_lshl_add_u64 v[46:47], v[46:47], 2, s[4:5]
	s_add_u32 s18, s18, 4
	s_addc_u32 s19, s19, 0
	s_add_u32 s16, s16, 28
	s_addc_u32 s17, s17, 0
	v_add_u32_e32 v37, 0x70, v37
	v_add_u32_e32 v36, 16, v36
	s_cmpk_eq_i32 s16, 0xc4
	s_waitcnt vmcnt(9) lgkmcnt(0)
	v_fma_f32 v40, -s26, v39, v55
	s_waitcnt vmcnt(8)
	v_fmac_f32_e32 v54, s26, v56
	v_fmac_f32_e32 v40, s0, v38
	v_fma_f32 v41, -v38, s8, v54
	v_fmac_f32_e32 v40, s25, v56
	v_fmac_f32_e32 v41, s25, v39
	s_waitcnt vmcnt(7)
	v_fma_f32 v39, -v29, s8, v40
	v_fma_f32 v40, -v29, s0, v41
	global_store_dword v[0:1], v40, off
	global_store_dword v[2:3], v39, off
	global_load_dword v39, v[6:7], off
	s_nop 0
	global_load_dword v40, v[4:5], off
	s_waitcnt vmcnt(1)
	v_fma_f32 v39, -s26, v57, v39
	s_waitcnt vmcnt(0)
	v_fmac_f32_e32 v40, s26, v58
	v_fma_f32 v40, -v38, s9, v40
	v_fmac_f32_e32 v39, s1, v38
	v_fmac_f32_e32 v40, s25, v57
	;; [unrolled: 1-line block ×3, first 2 shown]
	v_fma_f32 v40, -v29, s1, v40
	v_fma_f32 v39, -v29, s9, v39
	global_store_dword v[4:5], v40, off
	global_store_dword v[6:7], v39, off
	global_load_dword v39, v[10:11], off
	s_nop 0
	global_load_dword v40, v[8:9], off
	s_waitcnt vmcnt(1)
	v_fma_f32 v39, -s26, v59, v39
	s_waitcnt vmcnt(0)
	v_fmac_f32_e32 v40, s26, v60
	v_fma_f32 v40, -v38, s10, v40
	v_fmac_f32_e32 v39, s2, v38
	v_fmac_f32_e32 v40, s25, v59
	;; [unrolled: 1-line block ×3, first 2 shown]
	v_fma_f32 v40, -v29, s2, v40
	v_fma_f32 v39, -v29, s10, v39
	global_store_dword v[8:9], v40, off
	global_store_dword v[10:11], v39, off
	global_load_dword v39, v[14:15], off
	s_nop 0
	global_load_dword v42, v[12:13], off
	v_add_u32_e32 v40, 0x48, v28
	v_ashrrev_i32_e32 v41, 31, v40
	v_lshl_add_u64 v[40:41], v[40:41], 2, s[4:5]
	global_load_dword v48, v[40:41], off
	s_waitcnt vmcnt(2)
	v_fma_f32 v39, -s26, v61, v39
	s_waitcnt vmcnt(1)
	v_fmac_f32_e32 v42, s26, v62
	v_fma_f32 v40, -v38, s11, v42
	v_fmac_f32_e32 v39, s3, v38
	v_fmac_f32_e32 v40, s25, v61
	;; [unrolled: 1-line block ×3, first 2 shown]
	v_fma_f32 v40, -v29, s3, v40
	v_fma_f32 v39, -v29, s11, v39
	global_store_dword v[12:13], v40, off
	global_store_dword v[14:15], v39, off
	global_load_dword v39, v[18:19], off
	s_nop 0
	global_load_dword v49, v[16:17], off
	v_add_u32_e32 v40, 0x50, v28
	v_add_u32_e32 v42, 0x58, v28
	v_ashrrev_i32_e32 v41, 31, v40
	v_ashrrev_i32_e32 v43, 31, v42
	v_lshl_add_u64 v[40:41], v[40:41], 2, s[4:5]
	v_lshl_add_u64 v[42:43], v[42:43], 2, s[4:5]
	global_load_dword v28, v[40:41], off
	global_load_dword v50, v[42:43], off
	;; [unrolled: 1-line block ×4, first 2 shown]
	s_load_dwordx2 s[0:1], s[22:23], 0xd4
	s_load_dword s2, s[22:23], 0xdc
	s_waitcnt vmcnt(5)
	v_fma_f32 v39, -s26, v63, v39
	s_waitcnt vmcnt(4)
	v_fmac_f32_e32 v49, s26, v48
	s_waitcnt lgkmcnt(0)
	v_fma_f32 v40, -v38, s0, v49
	v_fmac_f32_e32 v39, s20, v38
	v_fmac_f32_e32 v40, s25, v63
	;; [unrolled: 1-line block ×3, first 2 shown]
	v_fma_f32 v40, -v29, s20, v40
	v_fma_f32 v39, -v29, s0, v39
	global_store_dword v[16:17], v40, off
	global_store_dword v[18:19], v39, off
	global_load_dword v39, v[22:23], off
	s_nop 0
	global_load_dword v40, v[20:21], off
	s_waitcnt vmcnt(1)
	v_fma_f32 v39, -s26, v28, v39
	s_waitcnt vmcnt(0)
	v_fmac_f32_e32 v40, s26, v50
	v_fmac_f32_e32 v39, s21, v38
	v_fma_f32 v40, -v38, s1, v40
	v_fmac_f32_e32 v39, s25, v50
	v_fmac_f32_e32 v40, s25, v28
	v_fma_f32 v28, -v29, s1, v39
	v_fma_f32 v39, -v29, s21, v40
	global_store_dword v[20:21], v39, off
	global_store_dword v[22:23], v28, off
	global_load_dword v28, v[26:27], off
	s_nop 0
	global_load_dword v39, v[24:25], off
	s_waitcnt vmcnt(1)
	v_fma_f32 v28, -s26, v51, v28
	s_waitcnt vmcnt(0)
	v_fmac_f32_e32 v39, s26, v52
	v_fmac_f32_e32 v28, s27, v38
	v_fma_f32 v38, -v38, s2, v39
	v_fmac_f32_e32 v28, s25, v52
	v_fmac_f32_e32 v38, s25, v51
	v_fma_f32 v28, -v29, s2, v28
	v_fma_f32 v29, -v29, s27, v38
	global_store_dword v[24:25], v29, off
	global_store_dword v[26:27], v28, off
	s_cbranch_scc0 .LBB6_2
; %bb.3:                                ;   in Loop: Header=BB6_1 Depth=1
	s_add_i32 s24, s24, 1
	s_add_u32 s14, s14, 28
	s_addc_u32 s15, s15, 0
	s_cmp_eq_u32 s24, 7
	v_add_u32_e32 v35, 0x70, v35
	s_cbranch_scc0 .LBB6_1
; %bb.4:
	s_endpgm
	.section	.rodata,"a",@progbits
	.p2align	6, 0x0
	.amdhsa_kernel _Z31comm_aosoa_naive_constants_permPK15HIP_vector_typeIfLj2EEPS0_S2_
		.amdhsa_group_segment_fixed_size 0
		.amdhsa_private_segment_fixed_size 0
		.amdhsa_kernarg_size 280
		.amdhsa_user_sgpr_count 2
		.amdhsa_user_sgpr_dispatch_ptr 0
		.amdhsa_user_sgpr_queue_ptr 0
		.amdhsa_user_sgpr_kernarg_segment_ptr 1
		.amdhsa_user_sgpr_dispatch_id 0
		.amdhsa_user_sgpr_kernarg_preload_length 0
		.amdhsa_user_sgpr_kernarg_preload_offset 0
		.amdhsa_user_sgpr_private_segment_size 0
		.amdhsa_uses_dynamic_stack 0
		.amdhsa_enable_private_segment 0
		.amdhsa_system_sgpr_workgroup_id_x 1
		.amdhsa_system_sgpr_workgroup_id_y 0
		.amdhsa_system_sgpr_workgroup_id_z 0
		.amdhsa_system_sgpr_workgroup_info 0
		.amdhsa_system_vgpr_workitem_id 0
		.amdhsa_next_free_vgpr 64
		.amdhsa_next_free_sgpr 28
		.amdhsa_accum_offset 64
		.amdhsa_reserve_vcc 0
		.amdhsa_float_round_mode_32 0
		.amdhsa_float_round_mode_16_64 0
		.amdhsa_float_denorm_mode_32 3
		.amdhsa_float_denorm_mode_16_64 3
		.amdhsa_dx10_clamp 1
		.amdhsa_ieee_mode 1
		.amdhsa_fp16_overflow 0
		.amdhsa_tg_split 0
		.amdhsa_exception_fp_ieee_invalid_op 0
		.amdhsa_exception_fp_denorm_src 0
		.amdhsa_exception_fp_ieee_div_zero 0
		.amdhsa_exception_fp_ieee_overflow 0
		.amdhsa_exception_fp_ieee_underflow 0
		.amdhsa_exception_fp_ieee_inexact 0
		.amdhsa_exception_int_div_zero 0
	.end_amdhsa_kernel
	.text
.Lfunc_end6:
	.size	_Z31comm_aosoa_naive_constants_permPK15HIP_vector_typeIfLj2EEPS0_S2_, .Lfunc_end6-_Z31comm_aosoa_naive_constants_permPK15HIP_vector_typeIfLj2EEPS0_S2_
                                        ; -- End function
	.set _Z31comm_aosoa_naive_constants_permPK15HIP_vector_typeIfLj2EEPS0_S2_.num_vgpr, 64
	.set _Z31comm_aosoa_naive_constants_permPK15HIP_vector_typeIfLj2EEPS0_S2_.num_agpr, 0
	.set _Z31comm_aosoa_naive_constants_permPK15HIP_vector_typeIfLj2EEPS0_S2_.numbered_sgpr, 28
	.set _Z31comm_aosoa_naive_constants_permPK15HIP_vector_typeIfLj2EEPS0_S2_.num_named_barrier, 0
	.set _Z31comm_aosoa_naive_constants_permPK15HIP_vector_typeIfLj2EEPS0_S2_.private_seg_size, 0
	.set _Z31comm_aosoa_naive_constants_permPK15HIP_vector_typeIfLj2EEPS0_S2_.uses_vcc, 0
	.set _Z31comm_aosoa_naive_constants_permPK15HIP_vector_typeIfLj2EEPS0_S2_.uses_flat_scratch, 0
	.set _Z31comm_aosoa_naive_constants_permPK15HIP_vector_typeIfLj2EEPS0_S2_.has_dyn_sized_stack, 0
	.set _Z31comm_aosoa_naive_constants_permPK15HIP_vector_typeIfLj2EEPS0_S2_.has_recursion, 0
	.set _Z31comm_aosoa_naive_constants_permPK15HIP_vector_typeIfLj2EEPS0_S2_.has_indirect_call, 0
	.section	.AMDGPU.csdata,"",@progbits
; Kernel info:
; codeLenInByte = 1608
; TotalNumSgprs: 34
; NumVgprs: 64
; NumAgprs: 0
; TotalNumVgprs: 64
; ScratchSize: 0
; MemoryBound: 0
; FloatMode: 240
; IeeeMode: 1
; LDSByteSize: 0 bytes/workgroup (compile time only)
; SGPRBlocks: 4
; VGPRBlocks: 7
; NumSGPRsForWavesPerEU: 34
; NumVGPRsForWavesPerEU: 64
; AccumOffset: 64
; Occupancy: 8
; WaveLimiterHint : 1
; COMPUTE_PGM_RSRC2:SCRATCH_EN: 0
; COMPUTE_PGM_RSRC2:USER_SGPR: 2
; COMPUTE_PGM_RSRC2:TRAP_HANDLER: 0
; COMPUTE_PGM_RSRC2:TGID_X_EN: 1
; COMPUTE_PGM_RSRC2:TGID_Y_EN: 0
; COMPUTE_PGM_RSRC2:TGID_Z_EN: 0
; COMPUTE_PGM_RSRC2:TIDIG_COMP_CNT: 0
; COMPUTE_PGM_RSRC3_GFX90A:ACCUM_OFFSET: 15
; COMPUTE_PGM_RSRC3_GFX90A:TG_SPLIT: 0
	.text
	.protected	_Z23comm_aosoa_naive_directPK15HIP_vector_typeIfLj2EEPS0_S2_i ; -- Begin function _Z23comm_aosoa_naive_directPK15HIP_vector_typeIfLj2EEPS0_S2_i
	.globl	_Z23comm_aosoa_naive_directPK15HIP_vector_typeIfLj2EEPS0_S2_i
	.p2align	8
	.type	_Z23comm_aosoa_naive_directPK15HIP_vector_typeIfLj2EEPS0_S2_i,@function
_Z23comm_aosoa_naive_directPK15HIP_vector_typeIfLj2EEPS0_S2_i: ; @_Z23comm_aosoa_naive_directPK15HIP_vector_typeIfLj2EEPS0_S2_i
; %bb.0:
	s_load_dword s8, s[0:1], 0x18
	s_waitcnt lgkmcnt(0)
	s_cmp_lt_i32 s8, 1
	s_cbranch_scc1 .LBB7_7
; %bb.1:
	s_load_dword s3, s[0:1], 0x2c
	s_load_dwordx4 s[4:7], s[0:1], 0x0
	s_load_dwordx2 s[10:11], s[0:1], 0x10
	s_lshl_b32 s22, s8, 4
	s_mul_i32 s0, s22, s8
	s_waitcnt lgkmcnt(0)
	s_and_b32 s1, s3, 0xffff
	s_mul_i32 s2, s2, s1
	v_add_u32_e32 v6, s2, v0
	v_ashrrev_i32_e32 v0, 31, v6
	v_lshrrev_b32_e32 v0, 29, v0
	v_add_u32_e32 v0, v6, v0
	v_ashrrev_i32_e32 v1, 3, v0
	s_mul_i32 s23, s8, s8
	v_mul_lo_u32 v7, s0, v1
	v_and_b32_e32 v0, -8, v0
	s_mov_b32 s1, 0
	s_lshl_b32 s0, s23, 4
	v_sub_u32_e32 v8, v6, v0
	s_mov_b32 s9, s1
	s_add_i32 s0, s0, -8
	v_add_u32_e32 v9, 8, v8
	s_lshl_b64 s[2:3], s[8:9], 2
	v_mul_lo_u32 v10, v1, s0
	v_mov_b32_e32 v11, v6
	s_mov_b64 s[12:13], s[10:11]
	s_mov_b32 s9, s23
	s_mov_b32 s24, 0
.LBB7_2:                                ; =>This Loop Header: Depth=1
                                        ;     Child Loop BB7_3 Depth 2
                                        ;       Child Loop BB7_4 Depth 3
	s_mul_i32 s25, s24, s8
	v_mov_b32_e32 v12, v6
	s_mov_b64 s[14:15], s[10:11]
	s_mov_b32 s26, s23
	s_mov_b32 s27, s1
.LBB7_3:                                ;   Parent Loop BB7_2 Depth=1
                                        ; =>  This Loop Header: Depth=2
                                        ;       Child Loop BB7_4 Depth 3
	s_add_i32 s0, s27, s25
	v_lshl_add_u32 v2, s0, 4, v7
	v_add_u32_e32 v0, v9, v2
	v_ashrrev_i32_e32 v1, 31, v0
	v_add_u32_e32 v2, v2, v8
	v_lshl_add_u64 v[0:1], v[0:1], 2, s[6:7]
	v_ashrrev_i32_e32 v3, 31, v2
	v_lshl_add_u64 v[2:3], v[2:3], 2, s[6:7]
	global_load_dword v4, v[0:1], off
	global_load_dword v5, v[2:3], off
	s_mov_b32 s28, 0
	v_mov_b32_e32 v13, v11
	s_mov_b64 s[16:17], s[12:13]
	v_mov_b32_e32 v14, v12
	s_mov_b64 s[18:19], s[14:15]
	s_mov_b32 s20, s26
.LBB7_4:                                ;   Parent Loop BB7_2 Depth=1
                                        ;     Parent Loop BB7_3 Depth=2
                                        ; =>    This Inner Loop Header: Depth=3
	v_add_u32_e32 v16, v10, v14
	v_ashrrev_i32_e32 v17, 31, v16
	v_add_u32_e32 v20, 8, v16
	v_add_u32_e32 v18, v10, v13
	v_lshl_add_u64 v[16:17], v[16:17], 2, s[4:5]
	v_ashrrev_i32_e32 v21, 31, v20
	v_ashrrev_i32_e32 v19, 31, v18
	global_load_dword v16, v[16:17], off
	v_lshl_add_u64 v[20:21], v[20:21], 2, s[4:5]
	v_add_u32_e32 v22, 8, v18
	v_lshl_add_u64 v[18:19], v[18:19], 2, s[4:5]
	global_load_dword v17, v[20:21], off
	global_load_dword v24, v[18:19], off
	v_ashrrev_i32_e32 v23, 31, v22
	v_lshl_add_u64 v[18:19], v[22:23], 2, s[4:5]
	global_load_dword v18, v[18:19], off
	s_add_i32 s0, s9, s28
	s_lshl_b64 s[36:37], s[0:1], 2
	s_add_u32 s36, s10, s36
	s_addc_u32 s37, s11, s37
	s_ashr_i32 s21, s20, 31
	s_load_dword s30, s[16:17], 0x0
	s_load_dword s34, s[18:19], 0x0
	s_load_dword s0, s[36:37], 0x0
	s_lshl_b64 s[36:37], s[20:21], 2
	s_add_u32 s36, s10, s36
	s_addc_u32 s37, s11, s37
	s_load_dword s35, s[36:37], 0x0
	s_add_i32 s28, s28, 1
	s_add_i32 s20, s20, s8
	s_add_u32 s18, s18, s2
	s_addc_u32 s19, s19, s3
	s_add_u32 s16, s16, 4
	s_addc_u32 s17, s17, 0
	v_add_u32_e32 v14, s22, v14
	v_add_u32_e32 v13, 16, v13
	s_cmp_eq_u32 s8, s28
	s_waitcnt vmcnt(2) lgkmcnt(0)
	v_pk_fma_f32 v[20:21], s[30:31], v[16:17], v[4:5] op_sel_hi:[0,1,1]
	v_pk_fma_f32 v[4:5], s[30:31], v[16:17], v[4:5] op_sel_hi:[0,1,1] neg_lo:[1,0,0] neg_hi:[1,0,0]
	s_waitcnt vmcnt(1)
	v_pk_fma_f32 v[20:21], v[24:25], s[34:35], v[20:21] op_sel_hi:[0,1,1] neg_lo:[1,0,0] neg_hi:[1,0,0]
	v_pk_fma_f32 v[4:5], v[24:25], s[34:35], v[4:5] op_sel_hi:[0,1,1]
	v_mov_b32_e32 v5, v21
	v_pk_fma_f32 v[4:5], s[0:1], v[16:17], v[4:5] op_sel:[0,1,0] op_sel_hi:[0,0,1]
	s_waitcnt vmcnt(0)
	v_pk_fma_f32 v[4:5], v[18:19], s[34:35], v[4:5] op_sel:[0,1,0] op_sel_hi:[0,0,1] neg_lo:[1,0,0] neg_hi:[1,0,0]
	s_cbranch_scc0 .LBB7_4
; %bb.5:                                ;   in Loop: Header=BB7_3 Depth=2
	s_add_i32 s27, s27, 1
	s_add_i32 s26, s26, 1
	s_add_u32 s14, s14, 4
	s_addc_u32 s15, s15, 0
	s_cmp_eq_u32 s27, s8
	v_add_u32_e32 v12, 16, v12
	global_store_dword v[0:1], v4, off
	global_store_dword v[2:3], v5, off
	s_cbranch_scc0 .LBB7_3
; %bb.6:                                ;   in Loop: Header=BB7_2 Depth=1
	s_add_i32 s24, s24, 1
	s_add_i32 s9, s9, s8
	s_add_u32 s12, s12, s2
	s_addc_u32 s13, s13, s3
	s_cmp_eq_u32 s24, s8
	v_add_u32_e32 v11, s22, v11
	s_cbranch_scc0 .LBB7_2
.LBB7_7:
	s_endpgm
	.section	.rodata,"a",@progbits
	.p2align	6, 0x0
	.amdhsa_kernel _Z23comm_aosoa_naive_directPK15HIP_vector_typeIfLj2EEPS0_S2_i
		.amdhsa_group_segment_fixed_size 0
		.amdhsa_private_segment_fixed_size 0
		.amdhsa_kernarg_size 288
		.amdhsa_user_sgpr_count 2
		.amdhsa_user_sgpr_dispatch_ptr 0
		.amdhsa_user_sgpr_queue_ptr 0
		.amdhsa_user_sgpr_kernarg_segment_ptr 1
		.amdhsa_user_sgpr_dispatch_id 0
		.amdhsa_user_sgpr_kernarg_preload_length 0
		.amdhsa_user_sgpr_kernarg_preload_offset 0
		.amdhsa_user_sgpr_private_segment_size 0
		.amdhsa_uses_dynamic_stack 0
		.amdhsa_enable_private_segment 0
		.amdhsa_system_sgpr_workgroup_id_x 1
		.amdhsa_system_sgpr_workgroup_id_y 0
		.amdhsa_system_sgpr_workgroup_id_z 0
		.amdhsa_system_sgpr_workgroup_info 0
		.amdhsa_system_vgpr_workitem_id 0
		.amdhsa_next_free_vgpr 26
		.amdhsa_next_free_sgpr 38
		.amdhsa_accum_offset 28
		.amdhsa_reserve_vcc 0
		.amdhsa_float_round_mode_32 0
		.amdhsa_float_round_mode_16_64 0
		.amdhsa_float_denorm_mode_32 3
		.amdhsa_float_denorm_mode_16_64 3
		.amdhsa_dx10_clamp 1
		.amdhsa_ieee_mode 1
		.amdhsa_fp16_overflow 0
		.amdhsa_tg_split 0
		.amdhsa_exception_fp_ieee_invalid_op 0
		.amdhsa_exception_fp_denorm_src 0
		.amdhsa_exception_fp_ieee_div_zero 0
		.amdhsa_exception_fp_ieee_overflow 0
		.amdhsa_exception_fp_ieee_underflow 0
		.amdhsa_exception_fp_ieee_inexact 0
		.amdhsa_exception_int_div_zero 0
	.end_amdhsa_kernel
	.text
.Lfunc_end7:
	.size	_Z23comm_aosoa_naive_directPK15HIP_vector_typeIfLj2EEPS0_S2_i, .Lfunc_end7-_Z23comm_aosoa_naive_directPK15HIP_vector_typeIfLj2EEPS0_S2_i
                                        ; -- End function
	.set _Z23comm_aosoa_naive_directPK15HIP_vector_typeIfLj2EEPS0_S2_i.num_vgpr, 26
	.set _Z23comm_aosoa_naive_directPK15HIP_vector_typeIfLj2EEPS0_S2_i.num_agpr, 0
	.set _Z23comm_aosoa_naive_directPK15HIP_vector_typeIfLj2EEPS0_S2_i.numbered_sgpr, 38
	.set _Z23comm_aosoa_naive_directPK15HIP_vector_typeIfLj2EEPS0_S2_i.num_named_barrier, 0
	.set _Z23comm_aosoa_naive_directPK15HIP_vector_typeIfLj2EEPS0_S2_i.private_seg_size, 0
	.set _Z23comm_aosoa_naive_directPK15HIP_vector_typeIfLj2EEPS0_S2_i.uses_vcc, 0
	.set _Z23comm_aosoa_naive_directPK15HIP_vector_typeIfLj2EEPS0_S2_i.uses_flat_scratch, 0
	.set _Z23comm_aosoa_naive_directPK15HIP_vector_typeIfLj2EEPS0_S2_i.has_dyn_sized_stack, 0
	.set _Z23comm_aosoa_naive_directPK15HIP_vector_typeIfLj2EEPS0_S2_i.has_recursion, 0
	.set _Z23comm_aosoa_naive_directPK15HIP_vector_typeIfLj2EEPS0_S2_i.has_indirect_call, 0
	.section	.AMDGPU.csdata,"",@progbits
; Kernel info:
; codeLenInByte = 600
; TotalNumSgprs: 44
; NumVgprs: 26
; NumAgprs: 0
; TotalNumVgprs: 26
; ScratchSize: 0
; MemoryBound: 0
; FloatMode: 240
; IeeeMode: 1
; LDSByteSize: 0 bytes/workgroup (compile time only)
; SGPRBlocks: 5
; VGPRBlocks: 3
; NumSGPRsForWavesPerEU: 44
; NumVGPRsForWavesPerEU: 26
; AccumOffset: 28
; Occupancy: 8
; WaveLimiterHint : 0
; COMPUTE_PGM_RSRC2:SCRATCH_EN: 0
; COMPUTE_PGM_RSRC2:USER_SGPR: 2
; COMPUTE_PGM_RSRC2:TRAP_HANDLER: 0
; COMPUTE_PGM_RSRC2:TGID_X_EN: 1
; COMPUTE_PGM_RSRC2:TGID_Y_EN: 0
; COMPUTE_PGM_RSRC2:TGID_Z_EN: 0
; COMPUTE_PGM_RSRC2:TIDIG_COMP_CNT: 0
; COMPUTE_PGM_RSRC3_GFX90A:ACCUM_OFFSET: 6
; COMPUTE_PGM_RSRC3_GFX90A:TG_SPLIT: 0
	.text
	.protected	_Z33comm_aosoa_naive_constants_directPK15HIP_vector_typeIfLj2EEPS0_S2_ ; -- Begin function _Z33comm_aosoa_naive_constants_directPK15HIP_vector_typeIfLj2EEPS0_S2_
	.globl	_Z33comm_aosoa_naive_constants_directPK15HIP_vector_typeIfLj2EEPS0_S2_
	.p2align	8
	.type	_Z33comm_aosoa_naive_constants_directPK15HIP_vector_typeIfLj2EEPS0_S2_,@function
_Z33comm_aosoa_naive_constants_directPK15HIP_vector_typeIfLj2EEPS0_S2_: ; @_Z33comm_aosoa_naive_constants_directPK15HIP_vector_typeIfLj2EEPS0_S2_
; %bb.0:
	s_load_dword s3, s[0:1], 0x24
	s_load_dwordx4 s[4:7], s[0:1], 0x0
	s_load_dwordx2 s[12:13], s[0:1], 0x10
	s_mov_b32 s17, 0
	s_mov_b32 s26, 0
	s_waitcnt lgkmcnt(0)
	s_and_b32 s0, s3, 0xffff
	s_mul_i32 s2, s2, s0
	v_add_u32_e32 v0, s2, v0
	v_ashrrev_i32_e32 v1, 31, v0
	v_lshrrev_b32_e32 v1, 29, v1
	v_add_u32_e32 v1, v0, v1
	v_ashrrev_i32_e32 v2, 3, v1
	s_movk_i32 s0, 0x310
	v_mul_lo_u32 v6, v2, s0
	v_and_b32_e32 v1, -8, v1
	s_movk_i32 s0, 0x308
	v_sub_u32_e32 v7, v0, v1
	v_mad_u64_u32 v[0:1], s[0:1], v2, s0, v[0:1]
	s_add_u32 s14, s12, 0x16c
	v_add_u32_e32 v8, 8, v7
	s_addc_u32 s15, s13, 0
	v_mov_b32_e32 v1, v0
.LBB8_1:                                ; =>This Loop Header: Depth=1
                                        ;     Child Loop BB8_2 Depth 2
	s_mul_i32 s16, s26, 7
	s_lshl_b64 s[0:1], s[16:17], 2
	s_add_u32 s22, s12, s0
	s_mul_i32 s0, s26, 0x70
	s_addc_u32 s23, s13, s1
	v_add_u32_e32 v4, s0, v6
	s_lshl_b32 s0, s16, 4
	v_add3_u32 v9, s0, 16, v6
	v_add_u32_e32 v10, v9, v7
	v_ashrrev_i32_e32 v11, 31, v10
	v_lshl_add_u64 v[18:19], v[10:11], 2, s[4:5]
	v_add_u32_e32 v10, v8, v9
	v_ashrrev_i32_e32 v11, 31, v10
	v_add3_u32 v9, s0, 32, v6
	v_lshl_add_u64 v[20:21], v[10:11], 2, s[4:5]
	v_add_u32_e32 v10, v9, v7
	v_ashrrev_i32_e32 v11, 31, v10
	v_lshl_add_u64 v[22:23], v[10:11], 2, s[4:5]
	v_add_u32_e32 v10, v8, v9
	v_ashrrev_i32_e32 v11, 31, v10
	v_add3_u32 v9, s0, 48, v6
	v_lshl_add_u64 v[24:25], v[10:11], 2, s[4:5]
	v_add_u32_e32 v10, v9, v7
	v_add_u32_e32 v2, v4, v7
	v_ashrrev_i32_e32 v11, 31, v10
	v_ashrrev_i32_e32 v3, 31, v2
	v_add_u32_e32 v4, v8, v4
	v_lshl_add_u64 v[26:27], v[10:11], 2, s[4:5]
	v_add_u32_e32 v10, v8, v9
	s_add_i32 s1, s0, 0x50
	v_lshl_add_u64 v[2:3], v[2:3], 2, s[4:5]
	v_ashrrev_i32_e32 v5, 31, v4
	v_ashrrev_i32_e32 v11, 31, v10
	v_add_u32_e32 v17, s1, v6
	v_lshl_add_u64 v[4:5], v[4:5], 2, s[4:5]
	v_lshl_add_u64 v[28:29], v[10:11], 2, s[4:5]
	global_load_dword v9, v[2:3], off
	global_load_dword v10, v[4:5], off
	;; [unrolled: 1-line block ×8, first 2 shown]
	v_add_u32_e32 v18, v17, v7
	v_ashrrev_i32_e32 v19, 31, v18
	v_add3_u32 v4, s0, 64, v6
	v_lshl_add_u64 v[24:25], v[18:19], 2, s[4:5]
	v_add_u32_e32 v18, v8, v17
	s_addk_i32 s0, 0x60
	v_ashrrev_i32_e32 v19, 31, v18
	v_add_u32_e32 v17, s0, v6
	v_lshl_add_u64 v[26:27], v[18:19], 2, s[4:5]
	v_add_u32_e32 v18, v17, v7
	v_add_u32_e32 v2, v4, v7
	v_ashrrev_i32_e32 v19, 31, v18
	v_ashrrev_i32_e32 v3, 31, v2
	v_add_u32_e32 v4, v8, v4
	v_lshl_add_u64 v[28:29], v[18:19], 2, s[4:5]
	v_add_u32_e32 v18, v8, v17
	v_lshl_add_u64 v[2:3], v[2:3], 2, s[4:5]
	v_ashrrev_i32_e32 v5, 31, v4
	v_ashrrev_i32_e32 v19, 31, v18
	v_lshl_add_u64 v[4:5], v[4:5], 2, s[4:5]
	v_lshl_add_u64 v[30:31], v[18:19], 2, s[4:5]
	global_load_dword v17, v[2:3], off
	global_load_dword v18, v[4:5], off
	;; [unrolled: 1-line block ×6, first 2 shown]
	s_load_dwordx4 s[0:3], s[22:23], 0x0
	s_load_dwordx2 s[18:19], s[22:23], 0x10
	s_load_dword s16, s[22:23], 0x18
	s_load_dwordx4 s[8:11], s[22:23], 0xc4
	s_load_dwordx2 s[20:21], s[22:23], 0xd4
	s_load_dword s27, s[22:23], 0xdc
	s_mov_b64 s[22:23], s[14:15]
	s_mov_b32 s28, 0
.LBB8_2:                                ;   Parent Loop BB8_1 Depth=1
                                        ; =>  This Inner Loop Header: Depth=2
	v_add_u32_e32 v4, s28, v0
	v_ashrrev_i32_e32 v5, 31, v4
	v_lshl_add_u64 v[52:53], v[4:5], 2, s[4:5]
	global_load_dword v23, v[52:53], off
	v_add_u32_e32 v2, s28, v1
	v_add_u32_e32 v24, 8, v2
	s_add_u32 s24, s22, 0xfffffe94
	v_add_u32_e32 v26, 8, v4
	v_add_u32_e32 v28, 0x70, v4
	;; [unrolled: 1-line block ×13, first 2 shown]
	v_ashrrev_i32_e32 v25, 31, v24
	v_ashrrev_i32_e32 v3, 31, v2
	s_addc_u32 s25, s23, -1
	v_ashrrev_i32_e32 v27, 31, v26
	v_ashrrev_i32_e32 v29, 31, v28
	;; [unrolled: 1-line block ×13, first 2 shown]
	v_lshl_add_u64 v[4:5], v[24:25], 2, s[6:7]
	s_load_dword s29, s[22:23], 0x0
	s_load_dword s30, s[24:25], 0x0
	v_lshl_add_u64 v[2:3], v[2:3], 2, s[6:7]
	v_lshl_add_u64 v[24:25], v[26:27], 2, s[4:5]
	;; [unrolled: 1-line block ×14, first 2 shown]
	global_load_dword v50, v[4:5], off
	global_load_dword v51, v[2:3], off
	;; [unrolled: 1-line block ×11, first 2 shown]
	s_add_u32 s24, s22, 0xffffff58
	s_addc_u32 s25, s23, -1
	s_load_dword s31, s[24:25], 0x0
	global_load_dword v24, v[42:43], off
	global_load_dword v25, v[44:45], off
	;; [unrolled: 1-line block ×4, first 2 shown]
	s_add_u32 s24, s22, 0xfffffeb0
	s_addc_u32 s25, s23, -1
	s_load_dword s33, s[24:25], 0x0
	s_add_u32 s24, s22, 0xffffff74
	s_addc_u32 s25, s23, -1
	s_load_dword s34, s[24:25], 0x0
	;; [unrolled: 3-line block ×11, first 2 shown]
	s_add_i32 s28, s28, 16
	s_add_u32 s22, s22, 4
	s_addc_u32 s23, s23, 0
	s_cmpk_lg_i32 s28, 0x70
	s_waitcnt vmcnt(14) lgkmcnt(0)
	v_fma_f32 v28, -s0, v23, v50
	v_fmac_f32_e32 v28, s30, v9
	s_waitcnt vmcnt(12)
	v_fmac_f32_e32 v51, s0, v52
	v_fma_f32 v29, -v9, s31, v51
	v_fmac_f32_e32 v28, s8, v52
	v_fmac_f32_e32 v29, s8, v23
	v_fma_f32 v23, -v10, s31, v28
	v_fma_f32 v28, -s30, v10, v29
	s_waitcnt vmcnt(11)
	v_fma_f32 v23, -s1, v53, v23
	s_waitcnt vmcnt(10)
	v_fmac_f32_e32 v28, s1, v54
	v_fmac_f32_e32 v23, s33, v11
	v_fma_f32 v28, -v11, s34, v28
	v_fmac_f32_e32 v23, s9, v54
	v_fmac_f32_e32 v28, s9, v53
	v_fma_f32 v23, -v12, s34, v23
	v_fma_f32 v28, -s33, v12, v28
	s_waitcnt vmcnt(9)
	v_fma_f32 v23, -s2, v55, v23
	s_waitcnt vmcnt(8)
	v_fmac_f32_e32 v28, s2, v56
	v_fmac_f32_e32 v23, s35, v13
	v_fma_f32 v28, -v13, s36, v28
	v_fmac_f32_e32 v23, s10, v56
	v_fmac_f32_e32 v28, s10, v55
	v_fma_f32 v23, -v14, s36, v23
	v_fma_f32 v28, -s35, v14, v28
	s_waitcnt vmcnt(7)
	v_fma_f32 v23, -s3, v57, v23
	s_waitcnt vmcnt(6)
	v_fmac_f32_e32 v28, s3, v58
	v_fmac_f32_e32 v23, s37, v15
	v_fma_f32 v28, -v15, s38, v28
	v_fmac_f32_e32 v23, s11, v58
	v_fmac_f32_e32 v28, s11, v57
	v_fma_f32 v23, -v16, s38, v23
	v_fma_f32 v28, -s37, v16, v28
	s_waitcnt vmcnt(5)
	v_fma_f32 v23, -s18, v59, v23
	s_waitcnt vmcnt(4)
	v_fmac_f32_e32 v28, s18, v60
	v_fmac_f32_e32 v23, s39, v17
	v_fma_f32 v28, -v17, s40, v28
	v_fmac_f32_e32 v23, s20, v60
	v_fmac_f32_e32 v28, s20, v59
	v_fma_f32 v23, -v18, s40, v23
	v_fma_f32 v28, -s39, v18, v28
	s_waitcnt vmcnt(3)
	v_fma_f32 v23, -s19, v24, v23
	s_waitcnt vmcnt(2)
	v_fmac_f32_e32 v28, s19, v25
	v_fmac_f32_e32 v23, s41, v19
	v_fma_f32 v28, -v19, s42, v28
	v_fmac_f32_e32 v23, s21, v25
	v_fmac_f32_e32 v28, s21, v24
	v_fma_f32 v23, -v20, s42, v23
	v_fma_f32 v24, -s41, v20, v28
	s_waitcnt vmcnt(1)
	v_fma_f32 v23, -s16, v26, v23
	s_waitcnt vmcnt(0)
	v_fmac_f32_e32 v24, s16, v27
	v_fmac_f32_e32 v23, s24, v21
	v_fma_f32 v24, -v21, s29, v24
	v_fmac_f32_e32 v23, s27, v27
	v_fmac_f32_e32 v24, s27, v26
	v_fma_f32 v23, -v22, s29, v23
	v_fma_f32 v24, -s24, v22, v24
	global_store_dword v[4:5], v23, off
	global_store_dword v[2:3], v24, off
	s_cbranch_scc1 .LBB8_2
; %bb.3:                                ;   in Loop: Header=BB8_1 Depth=1
	s_add_i32 s26, s26, 1
	s_cmp_eq_u32 s26, 7
	v_add_u32_e32 v1, 0x70, v1
	s_cbranch_scc0 .LBB8_1
; %bb.4:
	s_endpgm
	.section	.rodata,"a",@progbits
	.p2align	6, 0x0
	.amdhsa_kernel _Z33comm_aosoa_naive_constants_directPK15HIP_vector_typeIfLj2EEPS0_S2_
		.amdhsa_group_segment_fixed_size 0
		.amdhsa_private_segment_fixed_size 0
		.amdhsa_kernarg_size 280
		.amdhsa_user_sgpr_count 2
		.amdhsa_user_sgpr_dispatch_ptr 0
		.amdhsa_user_sgpr_queue_ptr 0
		.amdhsa_user_sgpr_kernarg_segment_ptr 1
		.amdhsa_user_sgpr_dispatch_id 0
		.amdhsa_user_sgpr_kernarg_preload_length 0
		.amdhsa_user_sgpr_kernarg_preload_offset 0
		.amdhsa_user_sgpr_private_segment_size 0
		.amdhsa_uses_dynamic_stack 0
		.amdhsa_enable_private_segment 0
		.amdhsa_system_sgpr_workgroup_id_x 1
		.amdhsa_system_sgpr_workgroup_id_y 0
		.amdhsa_system_sgpr_workgroup_id_z 0
		.amdhsa_system_sgpr_workgroup_info 0
		.amdhsa_system_vgpr_workitem_id 0
		.amdhsa_next_free_vgpr 61
		.amdhsa_next_free_sgpr 43
		.amdhsa_accum_offset 64
		.amdhsa_reserve_vcc 0
		.amdhsa_float_round_mode_32 0
		.amdhsa_float_round_mode_16_64 0
		.amdhsa_float_denorm_mode_32 3
		.amdhsa_float_denorm_mode_16_64 3
		.amdhsa_dx10_clamp 1
		.amdhsa_ieee_mode 1
		.amdhsa_fp16_overflow 0
		.amdhsa_tg_split 0
		.amdhsa_exception_fp_ieee_invalid_op 0
		.amdhsa_exception_fp_denorm_src 0
		.amdhsa_exception_fp_ieee_div_zero 0
		.amdhsa_exception_fp_ieee_overflow 0
		.amdhsa_exception_fp_ieee_underflow 0
		.amdhsa_exception_fp_ieee_inexact 0
		.amdhsa_exception_int_div_zero 0
	.end_amdhsa_kernel
	.text
.Lfunc_end8:
	.size	_Z33comm_aosoa_naive_constants_directPK15HIP_vector_typeIfLj2EEPS0_S2_, .Lfunc_end8-_Z33comm_aosoa_naive_constants_directPK15HIP_vector_typeIfLj2EEPS0_S2_
                                        ; -- End function
	.set _Z33comm_aosoa_naive_constants_directPK15HIP_vector_typeIfLj2EEPS0_S2_.num_vgpr, 61
	.set _Z33comm_aosoa_naive_constants_directPK15HIP_vector_typeIfLj2EEPS0_S2_.num_agpr, 0
	.set _Z33comm_aosoa_naive_constants_directPK15HIP_vector_typeIfLj2EEPS0_S2_.numbered_sgpr, 43
	.set _Z33comm_aosoa_naive_constants_directPK15HIP_vector_typeIfLj2EEPS0_S2_.num_named_barrier, 0
	.set _Z33comm_aosoa_naive_constants_directPK15HIP_vector_typeIfLj2EEPS0_S2_.private_seg_size, 0
	.set _Z33comm_aosoa_naive_constants_directPK15HIP_vector_typeIfLj2EEPS0_S2_.uses_vcc, 0
	.set _Z33comm_aosoa_naive_constants_directPK15HIP_vector_typeIfLj2EEPS0_S2_.uses_flat_scratch, 0
	.set _Z33comm_aosoa_naive_constants_directPK15HIP_vector_typeIfLj2EEPS0_S2_.has_dyn_sized_stack, 0
	.set _Z33comm_aosoa_naive_constants_directPK15HIP_vector_typeIfLj2EEPS0_S2_.has_recursion, 0
	.set _Z33comm_aosoa_naive_constants_directPK15HIP_vector_typeIfLj2EEPS0_S2_.has_indirect_call, 0
	.section	.AMDGPU.csdata,"",@progbits
; Kernel info:
; codeLenInByte = 1748
; TotalNumSgprs: 49
; NumVgprs: 61
; NumAgprs: 0
; TotalNumVgprs: 61
; ScratchSize: 0
; MemoryBound: 0
; FloatMode: 240
; IeeeMode: 1
; LDSByteSize: 0 bytes/workgroup (compile time only)
; SGPRBlocks: 6
; VGPRBlocks: 7
; NumSGPRsForWavesPerEU: 49
; NumVGPRsForWavesPerEU: 61
; AccumOffset: 64
; Occupancy: 8
; WaveLimiterHint : 0
; COMPUTE_PGM_RSRC2:SCRATCH_EN: 0
; COMPUTE_PGM_RSRC2:USER_SGPR: 2
; COMPUTE_PGM_RSRC2:TRAP_HANDLER: 0
; COMPUTE_PGM_RSRC2:TGID_X_EN: 1
; COMPUTE_PGM_RSRC2:TGID_Y_EN: 0
; COMPUTE_PGM_RSRC2:TGID_Z_EN: 0
; COMPUTE_PGM_RSRC2:TIDIG_COMP_CNT: 0
; COMPUTE_PGM_RSRC3_GFX90A:ACCUM_OFFSET: 15
; COMPUTE_PGM_RSRC3_GFX90A:TG_SPLIT: 0
	.text
	.protected	_Z38comm_aosoa_naive_constants_direct_permPK15HIP_vector_typeIfLj2EEPS0_S2_ ; -- Begin function _Z38comm_aosoa_naive_constants_direct_permPK15HIP_vector_typeIfLj2EEPS0_S2_
	.globl	_Z38comm_aosoa_naive_constants_direct_permPK15HIP_vector_typeIfLj2EEPS0_S2_
	.p2align	8
	.type	_Z38comm_aosoa_naive_constants_direct_permPK15HIP_vector_typeIfLj2EEPS0_S2_,@function
_Z38comm_aosoa_naive_constants_direct_permPK15HIP_vector_typeIfLj2EEPS0_S2_: ; @_Z38comm_aosoa_naive_constants_direct_permPK15HIP_vector_typeIfLj2EEPS0_S2_
; %bb.0:
	s_load_dword s3, s[0:1], 0x24
	s_load_dwordx4 s[4:7], s[0:1], 0x0
	s_load_dwordx2 s[12:13], s[0:1], 0x10
	s_mov_b32 s24, 0
	s_mov_b64 s[14:15], 0xc4
	s_waitcnt lgkmcnt(0)
	s_and_b32 s0, s3, 0xffff
	s_mul_i32 s2, s2, s0
	v_add_u32_e32 v30, s2, v0
	v_ashrrev_i32_e32 v0, 31, v30
	v_lshrrev_b32_e32 v0, 29, v0
	v_add_u32_e32 v0, v30, v0
	v_ashrrev_i32_e32 v1, 3, v0
	s_movk_i32 s0, 0x310
	v_and_b32_e32 v0, -8, v0
	v_mul_lo_u32 v31, v1, s0
	v_sub_u32_e32 v32, v30, v0
	s_movk_i32 s0, 0x308
	v_add_u32_e32 v33, 8, v32
	v_mul_lo_u32 v34, v1, s0
	v_mov_b32_e32 v35, v30
.LBB9_1:                                ; =>This Loop Header: Depth=1
                                        ;     Child Loop BB9_2 Depth 2
	s_mul_i32 s0, s24, 0x70
	v_add_u32_e32 v24, s0, v31
	v_add_u32_e32 v6, 16, v24
	;; [unrolled: 1-line block ×21, first 2 shown]
	v_ashrrev_i32_e32 v1, 31, v0
	v_ashrrev_i32_e32 v3, 31, v2
	;; [unrolled: 1-line block ×14, first 2 shown]
	v_lshl_add_u64 v[0:1], v[0:1], 2, s[6:7]
	v_lshl_add_u64 v[2:3], v[2:3], 2, s[6:7]
	;; [unrolled: 1-line block ×14, first 2 shown]
	s_mov_b64 s[16:17], 0
	v_mov_b32_e32 v36, v35
	v_mov_b32_e32 v37, v30
	s_mov_b64 s[18:19], s[14:15]
.LBB9_2:                                ;   Parent Loop BB9_1 Depth=1
                                        ; =>  This Inner Loop Header: Depth=2
	v_add_u32_e32 v38, v34, v36
	v_add_u32_e32 v28, v34, v37
	v_ashrrev_i32_e32 v39, 31, v38
	v_add_u32_e32 v40, 8, v38
	v_add_u32_e32 v42, 8, v28
	global_load_dword v54, v[0:1], off
	global_load_dword v55, v[2:3], off
	v_ashrrev_i32_e32 v29, 31, v28
	v_lshl_add_u64 v[44:45], v[38:39], 2, s[4:5]
	v_ashrrev_i32_e32 v41, 31, v40
	v_ashrrev_i32_e32 v43, 31, v42
	v_lshl_add_u64 v[46:47], v[28:29], 2, s[4:5]
	v_lshl_add_u64 v[40:41], v[40:41], 2, s[4:5]
	;; [unrolled: 1-line block ×3, first 2 shown]
	global_load_dword v38, v[44:45], off
	global_load_dword v39, v[46:47], off
	global_load_dword v56, v[42:43], off
	global_load_dword v29, v[40:41], off
	s_add_u32 s0, s12, s18
	s_addc_u32 s1, s13, s19
	s_add_u32 s2, s0, 0xffffff3c
	v_add_u32_e32 v40, 16, v28
	s_addc_u32 s3, s1, -1
	v_add_u32_e32 v42, 24, v28
	v_add_u32_e32 v44, 32, v28
	;; [unrolled: 1-line block ×6, first 2 shown]
	v_ashrrev_i32_e32 v41, 31, v40
	s_load_dword s26, s[2:3], 0x0
	s_load_dword s25, s[0:1], 0x0
	s_add_u32 s22, s12, s16
	v_ashrrev_i32_e32 v43, 31, v42
	v_ashrrev_i32_e32 v45, 31, v44
	;; [unrolled: 1-line block ×6, first 2 shown]
	v_lshl_add_u64 v[40:41], v[40:41], 2, s[4:5]
	s_addc_u32 s23, s13, s17
	v_lshl_add_u64 v[42:43], v[42:43], 2, s[4:5]
	v_lshl_add_u64 v[44:45], v[44:45], 2, s[4:5]
	;; [unrolled: 1-line block ×6, first 2 shown]
	global_load_dword v57, v[40:41], off
	global_load_dword v58, v[42:43], off
	;; [unrolled: 1-line block ×7, first 2 shown]
	s_load_dwordx4 s[0:3], s[22:23], 0x0
	s_load_dword s27, s[22:23], 0x18
	s_load_dwordx4 s[8:11], s[22:23], 0xc4
	s_load_dwordx2 s[20:21], s[22:23], 0x10
	v_add_u32_e32 v44, 0x60, v28
	v_add_u32_e32 v46, 0x68, v28
	v_ashrrev_i32_e32 v45, 31, v44
	v_ashrrev_i32_e32 v47, 31, v46
	v_lshl_add_u64 v[44:45], v[44:45], 2, s[4:5]
	v_lshl_add_u64 v[46:47], v[46:47], 2, s[4:5]
	s_add_u32 s18, s18, 4
	s_addc_u32 s19, s19, 0
	s_add_u32 s16, s16, 28
	s_addc_u32 s17, s17, 0
	v_add_u32_e32 v37, 0x70, v37
	v_add_u32_e32 v36, 16, v36
	s_cmpk_eq_i32 s16, 0xc4
	s_waitcnt vmcnt(9) lgkmcnt(0)
	v_fma_f32 v40, -s26, v39, v54
	s_waitcnt vmcnt(8)
	v_fmac_f32_e32 v55, s26, v56
	v_fmac_f32_e32 v40, s0, v38
	v_fma_f32 v41, -v38, s8, v55
	v_fmac_f32_e32 v40, s25, v56
	v_fmac_f32_e32 v41, s25, v39
	s_waitcnt vmcnt(7)
	v_fma_f32 v39, -v29, s8, v40
	v_fma_f32 v40, -v29, s0, v41
	global_store_dword v[0:1], v39, off
	global_store_dword v[2:3], v40, off
	global_load_dword v39, v[4:5], off
	s_nop 0
	global_load_dword v40, v[6:7], off
	s_waitcnt vmcnt(1)
	v_fma_f32 v39, -s26, v57, v39
	s_waitcnt vmcnt(0)
	v_fmac_f32_e32 v40, s26, v58
	v_fmac_f32_e32 v39, s1, v38
	v_fma_f32 v40, -v38, s9, v40
	v_fmac_f32_e32 v39, s25, v58
	v_fmac_f32_e32 v40, s25, v57
	v_fma_f32 v39, -v29, s9, v39
	v_fma_f32 v40, -v29, s1, v40
	global_store_dword v[4:5], v39, off
	global_store_dword v[6:7], v40, off
	global_load_dword v39, v[8:9], off
	s_nop 0
	global_load_dword v40, v[10:11], off
	s_waitcnt vmcnt(1)
	v_fma_f32 v39, -s26, v59, v39
	s_waitcnt vmcnt(0)
	v_fmac_f32_e32 v40, s26, v60
	v_fmac_f32_e32 v39, s2, v38
	v_fma_f32 v40, -v38, s10, v40
	v_fmac_f32_e32 v39, s25, v60
	v_fmac_f32_e32 v40, s25, v59
	v_fma_f32 v39, -v29, s10, v39
	v_fma_f32 v40, -v29, s2, v40
	global_store_dword v[8:9], v39, off
	global_store_dword v[10:11], v40, off
	global_load_dword v39, v[12:13], off
	s_nop 0
	global_load_dword v42, v[14:15], off
	v_add_u32_e32 v40, 0x48, v28
	v_ashrrev_i32_e32 v41, 31, v40
	v_lshl_add_u64 v[40:41], v[40:41], 2, s[4:5]
	global_load_dword v48, v[40:41], off
	s_waitcnt vmcnt(2)
	v_fma_f32 v39, -s26, v61, v39
	s_waitcnt vmcnt(1)
	v_fmac_f32_e32 v42, s26, v62
	v_fmac_f32_e32 v39, s3, v38
	v_fma_f32 v40, -v38, s11, v42
	v_fmac_f32_e32 v39, s25, v62
	v_fmac_f32_e32 v40, s25, v61
	v_fma_f32 v39, -v29, s11, v39
	v_fma_f32 v40, -v29, s3, v40
	global_store_dword v[12:13], v39, off
	global_store_dword v[14:15], v40, off
	global_load_dword v39, v[16:17], off
	s_nop 0
	global_load_dword v49, v[18:19], off
	v_add_u32_e32 v40, 0x50, v28
	v_add_u32_e32 v42, 0x58, v28
	v_ashrrev_i32_e32 v41, 31, v40
	v_ashrrev_i32_e32 v43, 31, v42
	v_lshl_add_u64 v[40:41], v[40:41], 2, s[4:5]
	v_lshl_add_u64 v[42:43], v[42:43], 2, s[4:5]
	global_load_dword v28, v[40:41], off
	global_load_dword v50, v[42:43], off
	;; [unrolled: 1-line block ×4, first 2 shown]
	s_load_dwordx2 s[0:1], s[22:23], 0xd4
	s_load_dword s2, s[22:23], 0xdc
	s_waitcnt vmcnt(5)
	v_fma_f32 v39, -s26, v63, v39
	s_waitcnt vmcnt(4)
	v_fmac_f32_e32 v49, s26, v48
	v_fmac_f32_e32 v39, s20, v38
	s_waitcnt lgkmcnt(0)
	v_fma_f32 v40, -v38, s0, v49
	v_fmac_f32_e32 v39, s25, v48
	v_fmac_f32_e32 v40, s25, v63
	v_fma_f32 v39, -v29, s0, v39
	v_fma_f32 v40, -v29, s20, v40
	global_store_dword v[16:17], v39, off
	global_store_dword v[18:19], v40, off
	global_load_dword v39, v[20:21], off
	s_nop 0
	global_load_dword v40, v[22:23], off
	s_waitcnt vmcnt(1)
	v_fma_f32 v39, -s26, v28, v39
	s_waitcnt vmcnt(0)
	v_fmac_f32_e32 v40, s26, v50
	v_fmac_f32_e32 v39, s21, v38
	v_fma_f32 v40, -v38, s1, v40
	v_fmac_f32_e32 v39, s25, v50
	v_fmac_f32_e32 v40, s25, v28
	v_fma_f32 v28, -v29, s1, v39
	v_fma_f32 v39, -v29, s21, v40
	global_store_dword v[20:21], v28, off
	global_store_dword v[22:23], v39, off
	global_load_dword v28, v[24:25], off
	s_nop 0
	global_load_dword v39, v[26:27], off
	s_waitcnt vmcnt(1)
	v_fma_f32 v28, -s26, v51, v28
	s_waitcnt vmcnt(0)
	v_fmac_f32_e32 v39, s26, v52
	v_fmac_f32_e32 v28, s27, v38
	v_fma_f32 v38, -v38, s2, v39
	v_fmac_f32_e32 v28, s25, v52
	v_fmac_f32_e32 v38, s25, v51
	v_fma_f32 v28, -v29, s2, v28
	v_fma_f32 v29, -v29, s27, v38
	global_store_dword v[24:25], v28, off
	global_store_dword v[26:27], v29, off
	s_cbranch_scc0 .LBB9_2
; %bb.3:                                ;   in Loop: Header=BB9_1 Depth=1
	s_add_i32 s24, s24, 1
	s_add_u32 s14, s14, 28
	s_addc_u32 s15, s15, 0
	s_cmp_eq_u32 s24, 7
	v_add_u32_e32 v35, 0x70, v35
	s_cbranch_scc0 .LBB9_1
; %bb.4:
	s_endpgm
	.section	.rodata,"a",@progbits
	.p2align	6, 0x0
	.amdhsa_kernel _Z38comm_aosoa_naive_constants_direct_permPK15HIP_vector_typeIfLj2EEPS0_S2_
		.amdhsa_group_segment_fixed_size 0
		.amdhsa_private_segment_fixed_size 0
		.amdhsa_kernarg_size 280
		.amdhsa_user_sgpr_count 2
		.amdhsa_user_sgpr_dispatch_ptr 0
		.amdhsa_user_sgpr_queue_ptr 0
		.amdhsa_user_sgpr_kernarg_segment_ptr 1
		.amdhsa_user_sgpr_dispatch_id 0
		.amdhsa_user_sgpr_kernarg_preload_length 0
		.amdhsa_user_sgpr_kernarg_preload_offset 0
		.amdhsa_user_sgpr_private_segment_size 0
		.amdhsa_uses_dynamic_stack 0
		.amdhsa_enable_private_segment 0
		.amdhsa_system_sgpr_workgroup_id_x 1
		.amdhsa_system_sgpr_workgroup_id_y 0
		.amdhsa_system_sgpr_workgroup_id_z 0
		.amdhsa_system_sgpr_workgroup_info 0
		.amdhsa_system_vgpr_workitem_id 0
		.amdhsa_next_free_vgpr 64
		.amdhsa_next_free_sgpr 28
		.amdhsa_accum_offset 64
		.amdhsa_reserve_vcc 0
		.amdhsa_float_round_mode_32 0
		.amdhsa_float_round_mode_16_64 0
		.amdhsa_float_denorm_mode_32 3
		.amdhsa_float_denorm_mode_16_64 3
		.amdhsa_dx10_clamp 1
		.amdhsa_ieee_mode 1
		.amdhsa_fp16_overflow 0
		.amdhsa_tg_split 0
		.amdhsa_exception_fp_ieee_invalid_op 0
		.amdhsa_exception_fp_denorm_src 0
		.amdhsa_exception_fp_ieee_div_zero 0
		.amdhsa_exception_fp_ieee_overflow 0
		.amdhsa_exception_fp_ieee_underflow 0
		.amdhsa_exception_fp_ieee_inexact 0
		.amdhsa_exception_int_div_zero 0
	.end_amdhsa_kernel
	.text
.Lfunc_end9:
	.size	_Z38comm_aosoa_naive_constants_direct_permPK15HIP_vector_typeIfLj2EEPS0_S2_, .Lfunc_end9-_Z38comm_aosoa_naive_constants_direct_permPK15HIP_vector_typeIfLj2EEPS0_S2_
                                        ; -- End function
	.set _Z38comm_aosoa_naive_constants_direct_permPK15HIP_vector_typeIfLj2EEPS0_S2_.num_vgpr, 64
	.set _Z38comm_aosoa_naive_constants_direct_permPK15HIP_vector_typeIfLj2EEPS0_S2_.num_agpr, 0
	.set _Z38comm_aosoa_naive_constants_direct_permPK15HIP_vector_typeIfLj2EEPS0_S2_.numbered_sgpr, 28
	.set _Z38comm_aosoa_naive_constants_direct_permPK15HIP_vector_typeIfLj2EEPS0_S2_.num_named_barrier, 0
	.set _Z38comm_aosoa_naive_constants_direct_permPK15HIP_vector_typeIfLj2EEPS0_S2_.private_seg_size, 0
	.set _Z38comm_aosoa_naive_constants_direct_permPK15HIP_vector_typeIfLj2EEPS0_S2_.uses_vcc, 0
	.set _Z38comm_aosoa_naive_constants_direct_permPK15HIP_vector_typeIfLj2EEPS0_S2_.uses_flat_scratch, 0
	.set _Z38comm_aosoa_naive_constants_direct_permPK15HIP_vector_typeIfLj2EEPS0_S2_.has_dyn_sized_stack, 0
	.set _Z38comm_aosoa_naive_constants_direct_permPK15HIP_vector_typeIfLj2EEPS0_S2_.has_recursion, 0
	.set _Z38comm_aosoa_naive_constants_direct_permPK15HIP_vector_typeIfLj2EEPS0_S2_.has_indirect_call, 0
	.section	.AMDGPU.csdata,"",@progbits
; Kernel info:
; codeLenInByte = 1608
; TotalNumSgprs: 34
; NumVgprs: 64
; NumAgprs: 0
; TotalNumVgprs: 64
; ScratchSize: 0
; MemoryBound: 0
; FloatMode: 240
; IeeeMode: 1
; LDSByteSize: 0 bytes/workgroup (compile time only)
; SGPRBlocks: 4
; VGPRBlocks: 7
; NumSGPRsForWavesPerEU: 34
; NumVGPRsForWavesPerEU: 64
; AccumOffset: 64
; Occupancy: 8
; WaveLimiterHint : 1
; COMPUTE_PGM_RSRC2:SCRATCH_EN: 0
; COMPUTE_PGM_RSRC2:USER_SGPR: 2
; COMPUTE_PGM_RSRC2:TRAP_HANDLER: 0
; COMPUTE_PGM_RSRC2:TGID_X_EN: 1
; COMPUTE_PGM_RSRC2:TGID_Y_EN: 0
; COMPUTE_PGM_RSRC2:TGID_Z_EN: 0
; COMPUTE_PGM_RSRC2:TIDIG_COMP_CNT: 0
; COMPUTE_PGM_RSRC3_GFX90A:ACCUM_OFFSET: 15
; COMPUTE_PGM_RSRC3_GFX90A:TG_SPLIT: 0
	.text
	.protected	_Z10comm_aosoaPK15HIP_vector_typeIfLj2EEPS0_S2_i ; -- Begin function _Z10comm_aosoaPK15HIP_vector_typeIfLj2EEPS0_S2_i
	.globl	_Z10comm_aosoaPK15HIP_vector_typeIfLj2EEPS0_S2_i
	.p2align	8
	.type	_Z10comm_aosoaPK15HIP_vector_typeIfLj2EEPS0_S2_i,@function
_Z10comm_aosoaPK15HIP_vector_typeIfLj2EEPS0_S2_i: ; @_Z10comm_aosoaPK15HIP_vector_typeIfLj2EEPS0_S2_i
; %bb.0:
	s_load_dword s2, s[0:1], 0x18
	s_waitcnt lgkmcnt(0)
	s_cmp_lt_i32 s2, 1
	s_cbranch_scc1 .LBB10_7
; %bb.1:
	s_load_dwordx4 s[4:7], s[0:1], 0x0
	s_load_dwordx2 s[8:9], s[0:1], 0x10
	s_lshl_b32 s22, s2, 4
	v_bfe_u32 v1, v0, 10, 10
	s_mov_b32 s1, 0
	s_mul_i32 s0, s22, s2
	v_lshl_add_u32 v1, s3, 6, v1
	v_and_b32_e32 v5, 0x3ff, v0
	s_mul_i32 s23, s2, s2
	s_mov_b32 s3, s1
	v_mul_lo_u32 v4, v1, s0
	v_add_u32_e32 v6, 8, v5
	s_lshl_b64 s[10:11], s[2:3], 2
	v_mov_b32_e32 v1, 0
	v_mov_b32_e32 v7, v5
	s_waitcnt lgkmcnt(0)
	s_mov_b64 s[12:13], s[8:9]
	s_mov_b32 s3, s23
	s_mov_b32 s24, 0
.LBB10_2:                               ; =>This Loop Header: Depth=1
                                        ;     Child Loop BB10_3 Depth 2
                                        ;       Child Loop BB10_4 Depth 3
	s_mul_i32 s25, s24, s2
	v_mov_b32_e32 v8, v5
	s_mov_b64 s[14:15], s[8:9]
	s_mov_b32 s26, s23
	s_mov_b32 s27, s1
.LBB10_3:                               ;   Parent Loop BB10_2 Depth=1
                                        ; =>  This Loop Header: Depth=2
                                        ;       Child Loop BB10_4 Depth 3
	v_mov_b32_e32 v2, 0
	s_mov_b32 s28, 0
	v_mov_b32_e32 v9, v7
	s_mov_b64 s[16:17], s[12:13]
	v_mov_b32_e32 v10, v8
	s_mov_b64 s[18:19], s[14:15]
	s_mov_b32 s20, s26
	v_mov_b32_e32 v3, v2
.LBB10_4:                               ;   Parent Loop BB10_2 Depth=1
                                        ;     Parent Loop BB10_3 Depth=2
                                        ; =>    This Inner Loop Header: Depth=3
	v_add_u32_e32 v0, v4, v10
	v_lshl_add_u64 v[14:15], v[0:1], 2, s[4:5]
	v_add_u32_e32 v0, 8, v0
	v_add_u32_e32 v12, v4, v9
	v_mov_b32_e32 v13, v1
	global_load_dword v15, v[14:15], off
	v_lshl_add_u64 v[18:19], v[0:1], 2, s[4:5]
	v_lshl_add_u64 v[16:17], v[12:13], 2, s[4:5]
	global_load_dword v14, v[18:19], off
	global_load_dword v20, v[16:17], off
	v_add_u32_e32 v0, 8, v12
	v_lshl_add_u64 v[12:13], v[0:1], 2, s[4:5]
	global_load_dword v0, v[12:13], off
	s_add_i32 s0, s3, s28
	s_lshl_b64 s[36:37], s[0:1], 2
	s_add_u32 s36, s8, s36
	s_addc_u32 s37, s9, s37
	s_ashr_i32 s21, s20, 31
	s_load_dword s30, s[16:17], 0x0
	s_load_dword s35, s[18:19], 0x0
	;; [unrolled: 1-line block ×3, first 2 shown]
	s_lshl_b64 s[36:37], s[20:21], 2
	s_add_u32 s36, s8, s36
	s_addc_u32 s37, s9, s37
	s_load_dword s34, s[36:37], 0x0
	s_add_i32 s28, s28, 1
	s_add_i32 s20, s20, s2
	s_add_u32 s18, s18, s10
	s_addc_u32 s19, s19, s11
	s_add_u32 s16, s16, 4
	s_addc_u32 s17, s17, 0
	v_add_u32_e32 v10, s22, v10
	v_add_u32_e32 v9, 16, v9
	s_cmp_eq_u32 s2, s28
	s_waitcnt vmcnt(2) lgkmcnt(0)
	v_pk_fma_f32 v[12:13], s[30:31], v[14:15], v[2:3] op_sel_hi:[0,1,1] neg_lo:[1,0,0] neg_hi:[1,0,0]
	v_pk_fma_f32 v[2:3], s[30:31], v[14:15], v[2:3] op_sel_hi:[0,1,1]
	s_waitcnt vmcnt(1)
	v_pk_fma_f32 v[12:13], v[20:21], s[34:35], v[12:13] op_sel_hi:[0,1,1]
	v_pk_fma_f32 v[2:3], v[20:21], s[34:35], v[2:3] op_sel_hi:[0,1,1] neg_lo:[1,0,0] neg_hi:[1,0,0]
	v_mov_b32_e32 v3, v13
	v_pk_fma_f32 v[2:3], v[14:15], s[0:1], v[2:3] op_sel:[1,0,0] op_sel_hi:[0,0,1]
	s_waitcnt vmcnt(0)
	v_pk_fma_f32 v[2:3], s[34:35], v[0:1], v[2:3] op_sel:[1,0,0] op_sel_hi:[0,0,1] neg_lo:[1,0,0] neg_hi:[1,0,0]
	s_cbranch_scc0 .LBB10_4
; %bb.5:                                ;   in Loop: Header=BB10_3 Depth=2
	s_add_i32 s0, s27, s25
	v_lshl_add_u32 v9, s0, 4, v4
	v_add_u32_e32 v0, v9, v5
	v_lshl_add_u64 v[10:11], v[0:1], 2, s[6:7]
	v_add_u32_e32 v0, v6, v9
	v_lshl_add_u64 v[12:13], v[0:1], 2, s[6:7]
	global_load_dword v14, v[10:11], off
	global_load_dword v0, v[12:13], off
	s_add_i32 s27, s27, 1
	s_add_i32 s26, s26, 1
	s_add_u32 s14, s14, 4
	s_addc_u32 s15, s15, 0
	s_cmp_eq_u32 s27, s2
	v_add_u32_e32 v8, 16, v8
	s_waitcnt vmcnt(1)
	v_add_f32_e32 v2, v2, v14
	s_waitcnt vmcnt(0)
	v_add_f32_e32 v0, v3, v0
	global_store_dword v[10:11], v2, off
	global_store_dword v[12:13], v0, off
	s_cbranch_scc0 .LBB10_3
; %bb.6:                                ;   in Loop: Header=BB10_2 Depth=1
	s_add_i32 s24, s24, 1
	s_add_i32 s3, s3, s2
	s_add_u32 s12, s12, s10
	s_addc_u32 s13, s13, s11
	s_cmp_eq_u32 s24, s2
	v_add_u32_e32 v7, s22, v7
	s_cbranch_scc0 .LBB10_2
.LBB10_7:
	s_endpgm
	.section	.rodata,"a",@progbits
	.p2align	6, 0x0
	.amdhsa_kernel _Z10comm_aosoaPK15HIP_vector_typeIfLj2EEPS0_S2_i
		.amdhsa_group_segment_fixed_size 0
		.amdhsa_private_segment_fixed_size 0
		.amdhsa_kernarg_size 28
		.amdhsa_user_sgpr_count 2
		.amdhsa_user_sgpr_dispatch_ptr 0
		.amdhsa_user_sgpr_queue_ptr 0
		.amdhsa_user_sgpr_kernarg_segment_ptr 1
		.amdhsa_user_sgpr_dispatch_id 0
		.amdhsa_user_sgpr_kernarg_preload_length 0
		.amdhsa_user_sgpr_kernarg_preload_offset 0
		.amdhsa_user_sgpr_private_segment_size 0
		.amdhsa_uses_dynamic_stack 0
		.amdhsa_enable_private_segment 0
		.amdhsa_system_sgpr_workgroup_id_x 1
		.amdhsa_system_sgpr_workgroup_id_y 1
		.amdhsa_system_sgpr_workgroup_id_z 0
		.amdhsa_system_sgpr_workgroup_info 0
		.amdhsa_system_vgpr_workitem_id 1
		.amdhsa_next_free_vgpr 22
		.amdhsa_next_free_sgpr 38
		.amdhsa_accum_offset 24
		.amdhsa_reserve_vcc 0
		.amdhsa_float_round_mode_32 0
		.amdhsa_float_round_mode_16_64 0
		.amdhsa_float_denorm_mode_32 3
		.amdhsa_float_denorm_mode_16_64 3
		.amdhsa_dx10_clamp 1
		.amdhsa_ieee_mode 1
		.amdhsa_fp16_overflow 0
		.amdhsa_tg_split 0
		.amdhsa_exception_fp_ieee_invalid_op 0
		.amdhsa_exception_fp_denorm_src 0
		.amdhsa_exception_fp_ieee_div_zero 0
		.amdhsa_exception_fp_ieee_overflow 0
		.amdhsa_exception_fp_ieee_underflow 0
		.amdhsa_exception_fp_ieee_inexact 0
		.amdhsa_exception_int_div_zero 0
	.end_amdhsa_kernel
	.text
.Lfunc_end10:
	.size	_Z10comm_aosoaPK15HIP_vector_typeIfLj2EEPS0_S2_i, .Lfunc_end10-_Z10comm_aosoaPK15HIP_vector_typeIfLj2EEPS0_S2_i
                                        ; -- End function
	.set _Z10comm_aosoaPK15HIP_vector_typeIfLj2EEPS0_S2_i.num_vgpr, 22
	.set _Z10comm_aosoaPK15HIP_vector_typeIfLj2EEPS0_S2_i.num_agpr, 0
	.set _Z10comm_aosoaPK15HIP_vector_typeIfLj2EEPS0_S2_i.numbered_sgpr, 38
	.set _Z10comm_aosoaPK15HIP_vector_typeIfLj2EEPS0_S2_i.num_named_barrier, 0
	.set _Z10comm_aosoaPK15HIP_vector_typeIfLj2EEPS0_S2_i.private_seg_size, 0
	.set _Z10comm_aosoaPK15HIP_vector_typeIfLj2EEPS0_S2_i.uses_vcc, 0
	.set _Z10comm_aosoaPK15HIP_vector_typeIfLj2EEPS0_S2_i.uses_flat_scratch, 0
	.set _Z10comm_aosoaPK15HIP_vector_typeIfLj2EEPS0_S2_i.has_dyn_sized_stack, 0
	.set _Z10comm_aosoaPK15HIP_vector_typeIfLj2EEPS0_S2_i.has_recursion, 0
	.set _Z10comm_aosoaPK15HIP_vector_typeIfLj2EEPS0_S2_i.has_indirect_call, 0
	.section	.AMDGPU.csdata,"",@progbits
; Kernel info:
; codeLenInByte = 568
; TotalNumSgprs: 44
; NumVgprs: 22
; NumAgprs: 0
; TotalNumVgprs: 22
; ScratchSize: 0
; MemoryBound: 0
; FloatMode: 240
; IeeeMode: 1
; LDSByteSize: 0 bytes/workgroup (compile time only)
; SGPRBlocks: 5
; VGPRBlocks: 2
; NumSGPRsForWavesPerEU: 44
; NumVGPRsForWavesPerEU: 22
; AccumOffset: 24
; Occupancy: 8
; WaveLimiterHint : 0
; COMPUTE_PGM_RSRC2:SCRATCH_EN: 0
; COMPUTE_PGM_RSRC2:USER_SGPR: 2
; COMPUTE_PGM_RSRC2:TRAP_HANDLER: 0
; COMPUTE_PGM_RSRC2:TGID_X_EN: 1
; COMPUTE_PGM_RSRC2:TGID_Y_EN: 1
; COMPUTE_PGM_RSRC2:TGID_Z_EN: 0
; COMPUTE_PGM_RSRC2:TIDIG_COMP_CNT: 1
; COMPUTE_PGM_RSRC3_GFX90A:ACCUM_OFFSET: 5
; COMPUTE_PGM_RSRC3_GFX90A:TG_SPLIT: 0
	.text
	.protected	_Z20comm_aosoa_constantsPK15HIP_vector_typeIfLj2EEPS0_S2_ ; -- Begin function _Z20comm_aosoa_constantsPK15HIP_vector_typeIfLj2EEPS0_S2_
	.globl	_Z20comm_aosoa_constantsPK15HIP_vector_typeIfLj2EEPS0_S2_
	.p2align	8
	.type	_Z20comm_aosoa_constantsPK15HIP_vector_typeIfLj2EEPS0_S2_,@function
_Z20comm_aosoa_constantsPK15HIP_vector_typeIfLj2EEPS0_S2_: ; @_Z20comm_aosoa_constantsPK15HIP_vector_typeIfLj2EEPS0_S2_
; %bb.0:
	s_load_dwordx4 s[4:7], s[0:1], 0x0
	s_load_dwordx2 s[12:13], s[0:1], 0x10
	v_bfe_u32 v1, v0, 10, 10
	v_lshl_add_u32 v2, s3, 6, v1
	v_and_b32_e32 v15, 0x3ff, v0
	s_mul_i32 s3, s3, 0xc400
	s_movk_i32 s0, 0x310
	v_or_b32_e32 v0, s3, v15
	v_mad_u32_u24 v17, v1, s0, v0
	s_waitcnt lgkmcnt(0)
	s_add_u32 s14, s12, 0x16c
	v_mul_lo_u32 v14, v2, s0
	v_add_u32_e32 v16, 8, v15
	s_addc_u32 s15, s13, 0
	s_mov_b32 s17, 0
	v_mov_b32_e32 v1, 0
	v_mov_b32_e32 v18, v17
	s_mov_b32 s26, 0
.LBB11_1:                               ; =>This Loop Header: Depth=1
                                        ;     Child Loop BB11_2 Depth 2
	s_mul_i32 s16, s26, 7
	s_lshl_b64 s[0:1], s[16:17], 2
	s_add_u32 s22, s12, s0
	s_mul_i32 s0, s26, 0x70
	v_add_u32_e32 v4, s0, v14
	s_addc_u32 s23, s13, s1
	v_add_u32_e32 v0, v4, v15
	s_lshl_b32 s0, s16, 4
	v_lshl_add_u64 v[2:3], v[0:1], 2, s[4:5]
	v_add_u32_e32 v0, v16, v4
	v_add3_u32 v8, s0, 16, v14
	v_lshl_add_u64 v[4:5], v[0:1], 2, s[4:5]
	v_add_u32_e32 v0, v8, v15
	v_lshl_add_u64 v[6:7], v[0:1], 2, s[4:5]
	v_add_u32_e32 v0, v16, v8
	v_add3_u32 v12, s0, 32, v14
	v_lshl_add_u64 v[8:9], v[0:1], 2, s[4:5]
	v_add_u32_e32 v0, v12, v15
	;; [unrolled: 5-line block ×3, first 2 shown]
	v_lshl_add_u64 v[28:29], v[0:1], 2, s[4:5]
	v_add_u32_e32 v0, v16, v19
	v_lshl_add_u64 v[30:31], v[0:1], 2, s[4:5]
	global_load_dword v19, v[2:3], off
	global_load_dword v20, v[4:5], off
	;; [unrolled: 1-line block ×8, first 2 shown]
	v_add3_u32 v4, s0, 64, v14
	v_add_u32_e32 v0, v4, v15
	s_add_i32 s1, s0, 0x50
	v_lshl_add_u64 v[2:3], v[0:1], 2, s[4:5]
	v_add_u32_e32 v0, v16, v4
	v_add_u32_e32 v8, s1, v14
	v_lshl_add_u64 v[4:5], v[0:1], 2, s[4:5]
	v_add_u32_e32 v0, v8, v15
	s_addk_i32 s0, 0x60
	v_lshl_add_u64 v[6:7], v[0:1], 2, s[4:5]
	v_add_u32_e32 v0, v16, v8
	v_add_u32_e32 v12, s0, v14
	v_lshl_add_u64 v[8:9], v[0:1], 2, s[4:5]
	v_add_u32_e32 v0, v12, v15
	v_lshl_add_u64 v[10:11], v[0:1], 2, s[4:5]
	;; [unrolled: 2-line block ×3, first 2 shown]
	global_load_dword v27, v[2:3], off
	global_load_dword v28, v[4:5], off
	;; [unrolled: 1-line block ×6, first 2 shown]
	s_load_dwordx4 s[0:3], s[22:23], 0x0
	s_load_dwordx2 s[18:19], s[22:23], 0x10
	s_load_dword s16, s[22:23], 0x18
	s_load_dwordx4 s[8:11], s[22:23], 0xc4
	s_load_dwordx2 s[20:21], s[22:23], 0xd4
	s_load_dword s27, s[22:23], 0xdc
	s_mov_b64 s[22:23], s[14:15]
	s_mov_b32 s28, 0
.LBB11_2:                               ;   Parent Loop BB11_1 Depth=1
                                        ; =>  This Inner Loop Header: Depth=2
	v_add_u32_e32 v0, s28, v17
	v_lshl_add_u64 v[46:47], v[0:1], 2, s[4:5]
	global_load_dword v33, v[46:47], off
	s_add_u32 s24, s22, 0xfffffe94
	v_mov_b32_e32 v3, v1
	v_add_u32_e32 v2, 8, v0
	v_mov_b32_e32 v5, v1
	v_mov_b32_e32 v7, v1
	;; [unrolled: 1-line block ×6, first 2 shown]
	s_addc_u32 s25, s23, -1
	v_add_u32_e32 v4, 0x70, v0
	v_add_u32_e32 v6, 0x78, v0
	;; [unrolled: 1-line block ×6, first 2 shown]
	v_lshl_add_u64 v[2:3], v[2:3], 2, s[4:5]
	s_load_dword s29, s[22:23], 0x0
	s_load_dword s30, s[24:25], 0x0
	v_lshl_add_u64 v[4:5], v[4:5], 2, s[4:5]
	v_lshl_add_u64 v[6:7], v[6:7], 2, s[4:5]
	;; [unrolled: 1-line block ×6, first 2 shown]
	global_load_dword v48, v[2:3], off
	global_load_dword v49, v[4:5], off
	;; [unrolled: 1-line block ×7, first 2 shown]
	v_mov_b32_e32 v37, v1
	v_add_u32_e32 v36, 0x1c0, v0
	v_mov_b32_e32 v39, v1
	v_mov_b32_e32 v41, v1
	;; [unrolled: 1-line block ×4, first 2 shown]
	v_add_u32_e32 v38, 0x1c8, v0
	v_add_u32_e32 v40, 0x230, v0
	;; [unrolled: 1-line block ×5, first 2 shown]
	v_lshl_add_u64 v[36:37], v[36:37], 2, s[4:5]
	v_lshl_add_u64 v[38:39], v[38:39], 2, s[4:5]
	;; [unrolled: 1-line block ×6, first 2 shown]
	global_load_dword v6, v[36:37], off
	global_load_dword v7, v[38:39], off
	global_load_dword v8, v[40:41], off
	global_load_dword v9, v[42:43], off
	global_load_dword v10, v[44:45], off
	global_load_dword v11, v[46:47], off
	v_add_u32_e32 v0, s28, v18
	v_lshl_add_u64 v[2:3], v[0:1], 2, s[6:7]
	v_add_u32_e32 v0, 8, v0
	v_lshl_add_u64 v[4:5], v[0:1], 2, s[6:7]
	global_load_dword v12, v[2:3], off
	global_load_dword v0, v[4:5], off
	s_add_u32 s24, s22, 0xffffff58
	s_addc_u32 s25, s23, -1
	s_load_dword s31, s[24:25], 0x0
	s_add_u32 s24, s22, 0xfffffeb0
	s_addc_u32 s25, s23, -1
	s_load_dword s33, s[24:25], 0x0
	s_add_u32 s24, s22, 0xffffff74
	s_addc_u32 s25, s23, -1
	s_load_dword s34, s[24:25], 0x0
	s_add_u32 s24, s22, 0xfffffecc
	s_addc_u32 s25, s23, -1
	s_load_dword s35, s[24:25], 0x0
	s_add_u32 s24, s22, 0xffffff90
	s_addc_u32 s25, s23, -1
	s_load_dword s36, s[24:25], 0x0
	s_add_u32 s24, s22, 0xfffffee8
	s_addc_u32 s25, s23, -1
	s_load_dword s37, s[24:25], 0x0
	s_add_u32 s24, s22, 0xffffffac
	s_addc_u32 s25, s23, -1
	s_load_dword s38, s[24:25], 0x0
	s_add_u32 s24, s22, 0xffffff04
	s_addc_u32 s25, s23, -1
	s_load_dword s39, s[24:25], 0x0
	s_add_u32 s24, s22, 0xffffffc8
	s_addc_u32 s25, s23, -1
	s_load_dword s40, s[24:25], 0x0
	s_add_u32 s24, s22, 0xffffff20
	s_addc_u32 s25, s23, -1
	s_waitcnt vmcnt(15) lgkmcnt(0)
	v_fma_f32 v13, -s0, v33, 0
	v_fmac_f32_e32 v13, s30, v19
	s_load_dword s41, s[24:25], 0x0
	s_add_u32 s24, s22, 0xffffffe4
	s_addc_u32 s25, s23, -1
	s_load_dword s42, s[24:25], 0x0
	s_add_u32 s24, s22, 0xffffff3c
	s_addc_u32 s25, s23, -1
	s_load_dword s24, s[24:25], 0x0
	s_add_i32 s28, s28, 16
	s_add_u32 s22, s22, 4
	s_addc_u32 s23, s23, 0
	s_cmpk_lg_i32 s28, 0x70
	s_waitcnt vmcnt(14)
	v_fma_f32 v34, s0, v48, 0
	v_fmac_f32_e32 v13, s8, v48
	v_fma_f32 v34, -v19, s31, v34
	v_fma_f32 v13, -v20, s31, v13
	v_fmac_f32_e32 v34, s8, v33
	v_fma_f32 v33, -s30, v20, v34
	s_waitcnt vmcnt(13)
	v_fma_f32 v13, -s1, v49, v13
	v_fmac_f32_e32 v13, s33, v21
	s_waitcnt vmcnt(12)
	v_fmac_f32_e32 v33, s1, v50
	v_fmac_f32_e32 v13, s9, v50
	v_fma_f32 v33, -v21, s34, v33
	v_fma_f32 v13, -v22, s34, v13
	v_fmac_f32_e32 v33, s9, v49
	v_fma_f32 v33, -s33, v22, v33
	s_waitcnt vmcnt(11)
	v_fma_f32 v13, -s2, v51, v13
	v_fmac_f32_e32 v13, s35, v23
	s_waitcnt vmcnt(10)
	v_fmac_f32_e32 v33, s2, v52
	;; [unrolled: 10-line block ×4, first 2 shown]
	v_fmac_f32_e32 v13, s20, v7
	v_fma_f32 v7, -v27, s40, v33
	v_fma_f32 v13, -v28, s40, v13
	v_fmac_f32_e32 v7, s20, v6
	v_fma_f32 v6, -s39, v28, v7
	s_waitcnt vmcnt(5)
	v_fma_f32 v7, -s19, v8, v13
	s_waitcnt lgkmcnt(0)
	v_fmac_f32_e32 v7, s41, v29
	s_waitcnt vmcnt(4)
	v_fmac_f32_e32 v6, s19, v9
	v_fmac_f32_e32 v7, s21, v9
	v_fma_f32 v6, -v29, s42, v6
	v_fma_f32 v7, -v30, s42, v7
	v_fmac_f32_e32 v6, s21, v8
	v_fma_f32 v6, -s41, v30, v6
	s_waitcnt vmcnt(3)
	v_fma_f32 v7, -s16, v10, v7
	v_fmac_f32_e32 v7, s24, v31
	s_waitcnt vmcnt(2)
	v_fmac_f32_e32 v6, s16, v11
	v_fmac_f32_e32 v7, s27, v11
	v_fma_f32 v6, -v31, s29, v6
	v_fma_f32 v7, -v32, s29, v7
	v_fmac_f32_e32 v6, s27, v10
	v_fma_f32 v6, -s24, v32, v6
	s_waitcnt vmcnt(0)
	v_add_f32_e32 v0, v7, v0
	v_add_f32_e32 v6, v6, v12
	global_store_dword v[4:5], v0, off
	global_store_dword v[2:3], v6, off
	s_cbranch_scc1 .LBB11_2
; %bb.3:                                ;   in Loop: Header=BB11_1 Depth=1
	s_add_i32 s26, s26, 1
	s_cmp_eq_u32 s26, 7
	v_add_u32_e32 v18, 0x70, v18
	s_cbranch_scc0 .LBB11_1
; %bb.4:
	s_endpgm
	.section	.rodata,"a",@progbits
	.p2align	6, 0x0
	.amdhsa_kernel _Z20comm_aosoa_constantsPK15HIP_vector_typeIfLj2EEPS0_S2_
		.amdhsa_group_segment_fixed_size 0
		.amdhsa_private_segment_fixed_size 0
		.amdhsa_kernarg_size 24
		.amdhsa_user_sgpr_count 2
		.amdhsa_user_sgpr_dispatch_ptr 0
		.amdhsa_user_sgpr_queue_ptr 0
		.amdhsa_user_sgpr_kernarg_segment_ptr 1
		.amdhsa_user_sgpr_dispatch_id 0
		.amdhsa_user_sgpr_kernarg_preload_length 0
		.amdhsa_user_sgpr_kernarg_preload_offset 0
		.amdhsa_user_sgpr_private_segment_size 0
		.amdhsa_uses_dynamic_stack 0
		.amdhsa_enable_private_segment 0
		.amdhsa_system_sgpr_workgroup_id_x 1
		.amdhsa_system_sgpr_workgroup_id_y 1
		.amdhsa_system_sgpr_workgroup_id_z 0
		.amdhsa_system_sgpr_workgroup_info 0
		.amdhsa_system_vgpr_workitem_id 1
		.amdhsa_next_free_vgpr 55
		.amdhsa_next_free_sgpr 43
		.amdhsa_accum_offset 56
		.amdhsa_reserve_vcc 0
		.amdhsa_float_round_mode_32 0
		.amdhsa_float_round_mode_16_64 0
		.amdhsa_float_denorm_mode_32 3
		.amdhsa_float_denorm_mode_16_64 3
		.amdhsa_dx10_clamp 1
		.amdhsa_ieee_mode 1
		.amdhsa_fp16_overflow 0
		.amdhsa_tg_split 0
		.amdhsa_exception_fp_ieee_invalid_op 0
		.amdhsa_exception_fp_denorm_src 0
		.amdhsa_exception_fp_ieee_div_zero 0
		.amdhsa_exception_fp_ieee_overflow 0
		.amdhsa_exception_fp_ieee_underflow 0
		.amdhsa_exception_fp_ieee_inexact 0
		.amdhsa_exception_int_div_zero 0
	.end_amdhsa_kernel
	.text
.Lfunc_end11:
	.size	_Z20comm_aosoa_constantsPK15HIP_vector_typeIfLj2EEPS0_S2_, .Lfunc_end11-_Z20comm_aosoa_constantsPK15HIP_vector_typeIfLj2EEPS0_S2_
                                        ; -- End function
	.set _Z20comm_aosoa_constantsPK15HIP_vector_typeIfLj2EEPS0_S2_.num_vgpr, 55
	.set _Z20comm_aosoa_constantsPK15HIP_vector_typeIfLj2EEPS0_S2_.num_agpr, 0
	.set _Z20comm_aosoa_constantsPK15HIP_vector_typeIfLj2EEPS0_S2_.numbered_sgpr, 43
	.set _Z20comm_aosoa_constantsPK15HIP_vector_typeIfLj2EEPS0_S2_.num_named_barrier, 0
	.set _Z20comm_aosoa_constantsPK15HIP_vector_typeIfLj2EEPS0_S2_.private_seg_size, 0
	.set _Z20comm_aosoa_constantsPK15HIP_vector_typeIfLj2EEPS0_S2_.uses_vcc, 0
	.set _Z20comm_aosoa_constantsPK15HIP_vector_typeIfLj2EEPS0_S2_.uses_flat_scratch, 0
	.set _Z20comm_aosoa_constantsPK15HIP_vector_typeIfLj2EEPS0_S2_.has_dyn_sized_stack, 0
	.set _Z20comm_aosoa_constantsPK15HIP_vector_typeIfLj2EEPS0_S2_.has_recursion, 0
	.set _Z20comm_aosoa_constantsPK15HIP_vector_typeIfLj2EEPS0_S2_.has_indirect_call, 0
	.section	.AMDGPU.csdata,"",@progbits
; Kernel info:
; codeLenInByte = 1684
; TotalNumSgprs: 49
; NumVgprs: 55
; NumAgprs: 0
; TotalNumVgprs: 55
; ScratchSize: 0
; MemoryBound: 0
; FloatMode: 240
; IeeeMode: 1
; LDSByteSize: 0 bytes/workgroup (compile time only)
; SGPRBlocks: 6
; VGPRBlocks: 6
; NumSGPRsForWavesPerEU: 49
; NumVGPRsForWavesPerEU: 55
; AccumOffset: 56
; Occupancy: 8
; WaveLimiterHint : 0
; COMPUTE_PGM_RSRC2:SCRATCH_EN: 0
; COMPUTE_PGM_RSRC2:USER_SGPR: 2
; COMPUTE_PGM_RSRC2:TRAP_HANDLER: 0
; COMPUTE_PGM_RSRC2:TGID_X_EN: 1
; COMPUTE_PGM_RSRC2:TGID_Y_EN: 1
; COMPUTE_PGM_RSRC2:TGID_Z_EN: 0
; COMPUTE_PGM_RSRC2:TIDIG_COMP_CNT: 1
; COMPUTE_PGM_RSRC3_GFX90A:ACCUM_OFFSET: 13
; COMPUTE_PGM_RSRC3_GFX90A:TG_SPLIT: 0
	.text
	.protected	_Z25comm_aosoa_constants_permPK15HIP_vector_typeIfLj2EEPS0_S2_ ; -- Begin function _Z25comm_aosoa_constants_permPK15HIP_vector_typeIfLj2EEPS0_S2_
	.globl	_Z25comm_aosoa_constants_permPK15HIP_vector_typeIfLj2EEPS0_S2_
	.p2align	8
	.type	_Z25comm_aosoa_constants_permPK15HIP_vector_typeIfLj2EEPS0_S2_,@function
_Z25comm_aosoa_constants_permPK15HIP_vector_typeIfLj2EEPS0_S2_: ; @_Z25comm_aosoa_constants_permPK15HIP_vector_typeIfLj2EEPS0_S2_
; %bb.0:
	s_load_dwordx4 s[4:7], s[0:1], 0x0
	s_load_dwordx2 s[12:13], s[0:1], 0x10
	v_bfe_u32 v1, v0, 10, 10
	v_lshl_add_u32 v2, s3, 6, v1
	v_and_b32_e32 v31, 0x3ff, v0
	s_mul_i32 s3, s3, 0xc400
	s_movk_i32 s0, 0x310
	v_or_b32_e32 v34, s3, v31
	v_mul_lo_u32 v30, v2, s0
	v_add_u32_e32 v32, 8, v31
	v_mul_u32_u24_e32 v33, 0x310, v1
	s_mov_b32 s24, 0
	s_mov_b64 s[14:15], 0xc4
	v_mov_b32_e32 v1, 0
	v_mov_b32_e32 v35, v34
.LBB12_1:                               ; =>This Loop Header: Depth=1
                                        ;     Child Loop BB12_2 Depth 2
	s_mul_i32 s0, s24, 0x70
	v_add_u32_e32 v26, s0, v30
	v_add_u32_e32 v0, v26, v31
	s_waitcnt lgkmcnt(0)
	v_lshl_add_u64 v[2:3], v[0:1], 2, s[6:7]
	v_add_u32_e32 v0, v32, v26
	v_add_u32_e32 v8, 16, v26
	v_lshl_add_u64 v[4:5], v[0:1], 2, s[6:7]
	v_add_u32_e32 v0, v8, v31
	v_lshl_add_u64 v[6:7], v[0:1], 2, s[6:7]
	v_add_u32_e32 v0, v32, v8
	v_add_u32_e32 v12, 32, v26
	v_lshl_add_u64 v[8:9], v[0:1], 2, s[6:7]
	v_add_u32_e32 v0, v12, v31
	;; [unrolled: 5-line block ×6, first 2 shown]
	v_lshl_add_u64 v[26:27], v[0:1], 2, s[6:7]
	v_add_u32_e32 v0, v32, v28
	v_lshl_add_u64 v[28:29], v[0:1], 2, s[6:7]
	s_mov_b64 s[16:17], 0
	v_mov_b32_e32 v36, v35
	v_mov_b32_e32 v37, v34
	s_mov_b64 s[18:19], s[14:15]
.LBB12_2:                               ;   Parent Loop BB12_1 Depth=1
                                        ; =>  This Inner Loop Header: Depth=2
	v_add_u32_e32 v0, v33, v36
	v_lshl_add_u64 v[38:39], v[0:1], 2, s[4:5]
	v_add_u32_e32 v0, 8, v0
	v_lshl_add_u64 v[42:43], v[0:1], 2, s[4:5]
	v_add_u32_e32 v0, v33, v37
	v_mov_b32_e32 v41, v1
	v_add_u32_e32 v40, 8, v0
	global_load_dword v54, v[2:3], off
	global_load_dword v55, v[4:5], off
	v_lshl_add_u64 v[44:45], v[0:1], 2, s[4:5]
	global_load_dword v38, v[38:39], off
	s_nop 0
	global_load_dword v39, v[42:43], off
	global_load_dword v56, v[44:45], off
	v_lshl_add_u64 v[40:41], v[40:41], 2, s[4:5]
	global_load_dword v57, v[40:41], off
	s_add_u32 s0, s12, s18
	s_addc_u32 s1, s13, s19
	s_add_u32 s2, s0, 0xffffff3c
	s_addc_u32 s3, s1, -1
	v_mov_b32_e32 v41, v1
	v_mov_b32_e32 v49, v1
	v_add_u32_e32 v40, 16, v0
	v_add_u32_e32 v48, 48, v0
	s_add_u32 s20, s12, s16
	v_mov_b32_e32 v43, v1
	v_mov_b32_e32 v45, v1
	;; [unrolled: 1-line block ×5, first 2 shown]
	v_add_u32_e32 v42, 24, v0
	v_add_u32_e32 v44, 32, v0
	;; [unrolled: 1-line block ×5, first 2 shown]
	s_load_dword s26, s[2:3], 0x0
	s_load_dword s25, s[0:1], 0x0
	v_lshl_add_u64 v[40:41], v[40:41], 2, s[4:5]
	v_lshl_add_u64 v[48:49], v[48:49], 2, s[4:5]
	s_addc_u32 s21, s13, s17
	v_lshl_add_u64 v[42:43], v[42:43], 2, s[4:5]
	v_lshl_add_u64 v[44:45], v[44:45], 2, s[4:5]
	v_lshl_add_u64 v[46:47], v[46:47], 2, s[4:5]
	v_lshl_add_u64 v[50:51], v[50:51], 2, s[4:5]
	v_lshl_add_u64 v[52:53], v[52:53], 2, s[4:5]
	global_load_dword v58, v[40:41], off
	global_load_dword v59, v[42:43], off
	;; [unrolled: 1-line block ×6, first 2 shown]
                                        ; kill: killed $vgpr48_vgpr49
                                        ; kill: killed $vgpr42_vgpr43
                                        ; kill: killed $vgpr46_vgpr47
                                        ; kill: killed $vgpr40_vgpr41
                                        ; kill: killed $vgpr50_vgpr51
                                        ; kill: killed $vgpr44_vgpr45
	s_nop 0
	global_load_dword v48, v[52:53], off
	s_load_dwordx4 s[0:3], s[20:21], 0x0
	s_load_dwordx2 s[22:23], s[20:21], 0x10
	s_load_dword s27, s[20:21], 0x18
	s_load_dwordx4 s[8:11], s[20:21], 0xc4
	v_mov_b32_e32 v45, v1
	v_add_u32_e32 v44, 0x60, v0
	v_lshl_add_u64 v[44:45], v[44:45], 2, s[4:5]
	s_add_u32 s18, s18, 4
	s_addc_u32 s19, s19, 0
	s_add_u32 s16, s16, 28
	s_addc_u32 s17, s17, 0
	v_add_u32_e32 v36, 16, v36
	v_add_u32_e32 v37, 0x70, v37
	s_cmpk_eq_i32 s16, 0xc4
	s_waitcnt vmcnt(8) lgkmcnt(0)
	v_fma_f32 v40, -s26, v56, v55
	v_fmac_f32_e32 v40, s0, v38
	s_waitcnt vmcnt(7)
	v_fmac_f32_e32 v54, s26, v57
	v_fmac_f32_e32 v40, s25, v57
	v_fma_f32 v41, -v38, s8, v54
	v_fma_f32 v40, -v39, s8, v40
	v_fmac_f32_e32 v41, s25, v56
	v_fma_f32 v41, -v39, s0, v41
	global_store_dword v[4:5], v40, off
	global_store_dword v[2:3], v41, off
	global_load_dword v40, v[6:7], off
	s_nop 0
	global_load_dword v41, v[8:9], off
	s_waitcnt vmcnt(1)
	v_fmac_f32_e32 v40, s26, v59
	s_waitcnt vmcnt(0)
	v_fma_f32 v41, -s26, v58, v41
	v_fma_f32 v40, -v38, s9, v40
	v_fmac_f32_e32 v41, s1, v38
	v_fmac_f32_e32 v40, s25, v58
	;; [unrolled: 1-line block ×3, first 2 shown]
	v_fma_f32 v40, -v39, s1, v40
	v_fma_f32 v41, -v39, s9, v41
	global_store_dword v[6:7], v40, off
	global_store_dword v[8:9], v41, off
	global_load_dword v40, v[12:13], off
	s_nop 0
	global_load_dword v41, v[10:11], off
	s_waitcnt vmcnt(1)
	v_fma_f32 v40, -s26, v60, v40
	s_waitcnt vmcnt(0)
	v_fmac_f32_e32 v41, s26, v61
	v_fma_f32 v41, -v38, s10, v41
	v_fmac_f32_e32 v40, s2, v38
	v_fmac_f32_e32 v41, s25, v60
	;; [unrolled: 1-line block ×3, first 2 shown]
	v_fma_f32 v41, -v39, s2, v41
	v_fma_f32 v40, -v39, s10, v40
	global_store_dword v[10:11], v41, off
	global_store_dword v[12:13], v40, off
	global_load_dword v42, v[16:17], off
	global_load_dword v43, v[14:15], off
	v_mov_b32_e32 v41, v1
	v_add_u32_e32 v40, 0x48, v0
	v_lshl_add_u64 v[40:41], v[40:41], 2, s[4:5]
	global_load_dword v49, v[40:41], off
	s_waitcnt vmcnt(2)
	v_fma_f32 v40, -s26, v62, v42
	s_waitcnt vmcnt(1)
	v_fmac_f32_e32 v43, s26, v63
	v_fma_f32 v41, -v38, s11, v43
	v_fmac_f32_e32 v40, s3, v38
	v_fmac_f32_e32 v41, s25, v62
	;; [unrolled: 1-line block ×3, first 2 shown]
	v_fma_f32 v41, -v39, s3, v41
	v_fma_f32 v40, -v39, s11, v40
	global_store_dword v[14:15], v41, off
	global_store_dword v[16:17], v40, off
	global_load_dword v50, v[20:21], off
	global_load_dword v51, v[18:19], off
	v_mov_b32_e32 v41, v1
	v_add_u32_e32 v40, 0x50, v0
	v_mov_b32_e32 v43, v1
	v_add_u32_e32 v42, 0x58, v0
	v_add_u32_e32 v0, 0x68, v0
	v_lshl_add_u64 v[40:41], v[40:41], 2, s[4:5]
	v_lshl_add_u64 v[42:43], v[42:43], 2, s[4:5]
	;; [unrolled: 1-line block ×3, first 2 shown]
	global_load_dword v0, v[40:41], off
	global_load_dword v52, v[42:43], off
	;; [unrolled: 1-line block ×4, first 2 shown]
	s_load_dwordx2 s[0:1], s[20:21], 0xd4
	s_load_dword s2, s[20:21], 0xdc
	s_waitcnt vmcnt(5)
	v_fma_f32 v40, -s26, v48, v50
	s_waitcnt vmcnt(4)
	v_fmac_f32_e32 v51, s26, v49
	s_waitcnt lgkmcnt(0)
	v_fma_f32 v41, -v38, s0, v51
	v_fmac_f32_e32 v40, s22, v38
	v_fmac_f32_e32 v41, s25, v48
	;; [unrolled: 1-line block ×3, first 2 shown]
	v_fma_f32 v41, -v39, s22, v41
	v_fma_f32 v40, -v39, s0, v40
	global_store_dword v[18:19], v41, off
	global_store_dword v[20:21], v40, off
	global_load_dword v40, v[24:25], off
	s_nop 0
	global_load_dword v41, v[22:23], off
	s_waitcnt vmcnt(1)
	v_fma_f32 v40, -s26, v0, v40
	s_waitcnt vmcnt(0)
	v_fmac_f32_e32 v41, s26, v52
	v_fmac_f32_e32 v40, s23, v38
	v_fma_f32 v41, -v38, s1, v41
	v_fmac_f32_e32 v40, s25, v52
	v_fmac_f32_e32 v41, s25, v0
	v_fma_f32 v0, -v39, s1, v40
	v_fma_f32 v40, -v39, s23, v41
	global_store_dword v[22:23], v40, off
	global_store_dword v[24:25], v0, off
	global_load_dword v0, v[28:29], off
	s_nop 0
	global_load_dword v40, v[26:27], off
	s_waitcnt vmcnt(1)
	v_fma_f32 v0, -s26, v53, v0
	s_waitcnt vmcnt(0)
	v_fmac_f32_e32 v40, s26, v54
	v_fmac_f32_e32 v0, s27, v38
	v_fma_f32 v38, -v38, s2, v40
	v_fmac_f32_e32 v38, s25, v53
	v_fmac_f32_e32 v0, s25, v54
	v_fma_f32 v38, -v39, s27, v38
	v_fma_f32 v0, -v39, s2, v0
	global_store_dword v[26:27], v38, off
	global_store_dword v[28:29], v0, off
	s_cbranch_scc0 .LBB12_2
; %bb.3:                                ;   in Loop: Header=BB12_1 Depth=1
	s_add_i32 s24, s24, 1
	s_add_u32 s14, s14, 28
	s_addc_u32 s15, s15, 0
	s_cmp_eq_u32 s24, 7
	v_add_u32_e32 v35, 0x70, v35
	s_cbranch_scc0 .LBB12_1
; %bb.4:
	s_endpgm
	.section	.rodata,"a",@progbits
	.p2align	6, 0x0
	.amdhsa_kernel _Z25comm_aosoa_constants_permPK15HIP_vector_typeIfLj2EEPS0_S2_
		.amdhsa_group_segment_fixed_size 0
		.amdhsa_private_segment_fixed_size 0
		.amdhsa_kernarg_size 24
		.amdhsa_user_sgpr_count 2
		.amdhsa_user_sgpr_dispatch_ptr 0
		.amdhsa_user_sgpr_queue_ptr 0
		.amdhsa_user_sgpr_kernarg_segment_ptr 1
		.amdhsa_user_sgpr_dispatch_id 0
		.amdhsa_user_sgpr_kernarg_preload_length 0
		.amdhsa_user_sgpr_kernarg_preload_offset 0
		.amdhsa_user_sgpr_private_segment_size 0
		.amdhsa_uses_dynamic_stack 0
		.amdhsa_enable_private_segment 0
		.amdhsa_system_sgpr_workgroup_id_x 1
		.amdhsa_system_sgpr_workgroup_id_y 1
		.amdhsa_system_sgpr_workgroup_id_z 0
		.amdhsa_system_sgpr_workgroup_info 0
		.amdhsa_system_vgpr_workitem_id 1
		.amdhsa_next_free_vgpr 64
		.amdhsa_next_free_sgpr 28
		.amdhsa_accum_offset 64
		.amdhsa_reserve_vcc 0
		.amdhsa_float_round_mode_32 0
		.amdhsa_float_round_mode_16_64 0
		.amdhsa_float_denorm_mode_32 3
		.amdhsa_float_denorm_mode_16_64 3
		.amdhsa_dx10_clamp 1
		.amdhsa_ieee_mode 1
		.amdhsa_fp16_overflow 0
		.amdhsa_tg_split 0
		.amdhsa_exception_fp_ieee_invalid_op 0
		.amdhsa_exception_fp_denorm_src 0
		.amdhsa_exception_fp_ieee_div_zero 0
		.amdhsa_exception_fp_ieee_overflow 0
		.amdhsa_exception_fp_ieee_underflow 0
		.amdhsa_exception_fp_ieee_inexact 0
		.amdhsa_exception_int_div_zero 0
	.end_amdhsa_kernel
	.text
.Lfunc_end12:
	.size	_Z25comm_aosoa_constants_permPK15HIP_vector_typeIfLj2EEPS0_S2_, .Lfunc_end12-_Z25comm_aosoa_constants_permPK15HIP_vector_typeIfLj2EEPS0_S2_
                                        ; -- End function
	.set _Z25comm_aosoa_constants_permPK15HIP_vector_typeIfLj2EEPS0_S2_.num_vgpr, 64
	.set _Z25comm_aosoa_constants_permPK15HIP_vector_typeIfLj2EEPS0_S2_.num_agpr, 0
	.set _Z25comm_aosoa_constants_permPK15HIP_vector_typeIfLj2EEPS0_S2_.numbered_sgpr, 28
	.set _Z25comm_aosoa_constants_permPK15HIP_vector_typeIfLj2EEPS0_S2_.num_named_barrier, 0
	.set _Z25comm_aosoa_constants_permPK15HIP_vector_typeIfLj2EEPS0_S2_.private_seg_size, 0
	.set _Z25comm_aosoa_constants_permPK15HIP_vector_typeIfLj2EEPS0_S2_.uses_vcc, 0
	.set _Z25comm_aosoa_constants_permPK15HIP_vector_typeIfLj2EEPS0_S2_.uses_flat_scratch, 0
	.set _Z25comm_aosoa_constants_permPK15HIP_vector_typeIfLj2EEPS0_S2_.has_dyn_sized_stack, 0
	.set _Z25comm_aosoa_constants_permPK15HIP_vector_typeIfLj2EEPS0_S2_.has_recursion, 0
	.set _Z25comm_aosoa_constants_permPK15HIP_vector_typeIfLj2EEPS0_S2_.has_indirect_call, 0
	.section	.AMDGPU.csdata,"",@progbits
; Kernel info:
; codeLenInByte = 1520
; TotalNumSgprs: 34
; NumVgprs: 64
; NumAgprs: 0
; TotalNumVgprs: 64
; ScratchSize: 0
; MemoryBound: 0
; FloatMode: 240
; IeeeMode: 1
; LDSByteSize: 0 bytes/workgroup (compile time only)
; SGPRBlocks: 4
; VGPRBlocks: 7
; NumSGPRsForWavesPerEU: 34
; NumVGPRsForWavesPerEU: 64
; AccumOffset: 64
; Occupancy: 8
; WaveLimiterHint : 1
; COMPUTE_PGM_RSRC2:SCRATCH_EN: 0
; COMPUTE_PGM_RSRC2:USER_SGPR: 2
; COMPUTE_PGM_RSRC2:TRAP_HANDLER: 0
; COMPUTE_PGM_RSRC2:TGID_X_EN: 1
; COMPUTE_PGM_RSRC2:TGID_Y_EN: 1
; COMPUTE_PGM_RSRC2:TGID_Z_EN: 0
; COMPUTE_PGM_RSRC2:TIDIG_COMP_CNT: 1
; COMPUTE_PGM_RSRC3_GFX90A:ACCUM_OFFSET: 15
; COMPUTE_PGM_RSRC3_GFX90A:TG_SPLIT: 0
	.text
	.protected	_Z17comm_aosoa_directPK15HIP_vector_typeIfLj2EEPS0_S2_i ; -- Begin function _Z17comm_aosoa_directPK15HIP_vector_typeIfLj2EEPS0_S2_i
	.globl	_Z17comm_aosoa_directPK15HIP_vector_typeIfLj2EEPS0_S2_i
	.p2align	8
	.type	_Z17comm_aosoa_directPK15HIP_vector_typeIfLj2EEPS0_S2_i,@function
_Z17comm_aosoa_directPK15HIP_vector_typeIfLj2EEPS0_S2_i: ; @_Z17comm_aosoa_directPK15HIP_vector_typeIfLj2EEPS0_S2_i
; %bb.0:
	s_load_dword s2, s[0:1], 0x18
	s_waitcnt lgkmcnt(0)
	s_cmp_lt_i32 s2, 1
	s_cbranch_scc1 .LBB13_7
; %bb.1:
	s_load_dwordx4 s[4:7], s[0:1], 0x0
	s_load_dwordx2 s[8:9], s[0:1], 0x10
	s_lshl_b32 s22, s2, 4
	v_bfe_u32 v1, v0, 10, 10
	s_mov_b32 s1, 0
	s_mul_i32 s0, s22, s2
	v_lshl_add_u32 v1, s3, 6, v1
	v_and_b32_e32 v9, 0x3ff, v0
	s_mul_i32 s23, s2, s2
	s_mov_b32 s3, s1
	v_mul_lo_u32 v8, v1, s0
	v_add_u32_e32 v10, 8, v9
	s_lshl_b64 s[10:11], s[2:3], 2
	v_mov_b32_e32 v1, 0
	v_mov_b32_e32 v11, v9
	s_waitcnt lgkmcnt(0)
	s_mov_b64 s[12:13], s[8:9]
	s_mov_b32 s3, s23
	s_mov_b32 s24, 0
.LBB13_2:                               ; =>This Loop Header: Depth=1
                                        ;     Child Loop BB13_3 Depth 2
                                        ;       Child Loop BB13_4 Depth 3
	s_mul_i32 s25, s24, s2
	v_mov_b32_e32 v12, v9
	s_mov_b64 s[14:15], s[8:9]
	s_mov_b32 s26, s23
	s_mov_b32 s27, s1
.LBB13_3:                               ;   Parent Loop BB13_2 Depth=1
                                        ; =>  This Loop Header: Depth=2
                                        ;       Child Loop BB13_4 Depth 3
	s_add_i32 s0, s27, s25
	v_lshl_add_u32 v4, s0, 4, v8
	v_add_u32_e32 v0, v10, v4
	v_lshl_add_u64 v[2:3], v[0:1], 2, s[6:7]
	v_add_u32_e32 v0, v4, v9
	v_lshl_add_u64 v[4:5], v[0:1], 2, s[6:7]
	global_load_dword v6, v[2:3], off
	global_load_dword v7, v[4:5], off
	s_mov_b32 s28, 0
	v_mov_b32_e32 v13, v11
	s_mov_b64 s[16:17], s[12:13]
	v_mov_b32_e32 v14, v12
	s_mov_b64 s[18:19], s[14:15]
	s_mov_b32 s20, s26
.LBB13_4:                               ;   Parent Loop BB13_2 Depth=1
                                        ;     Parent Loop BB13_3 Depth=2
                                        ; =>    This Inner Loop Header: Depth=3
	v_add_u32_e32 v0, v8, v14
	v_lshl_add_u64 v[18:19], v[0:1], 2, s[4:5]
	v_add_u32_e32 v0, 8, v0
	v_add_u32_e32 v16, v8, v13
	v_mov_b32_e32 v17, v1
	global_load_dword v18, v[18:19], off
	v_lshl_add_u64 v[22:23], v[0:1], 2, s[4:5]
	v_lshl_add_u64 v[20:21], v[16:17], 2, s[4:5]
	global_load_dword v19, v[22:23], off
	global_load_dword v24, v[20:21], off
	v_add_u32_e32 v0, 8, v16
	v_lshl_add_u64 v[16:17], v[0:1], 2, s[4:5]
	global_load_dword v0, v[16:17], off
	s_add_i32 s0, s3, s28
	s_lshl_b64 s[36:37], s[0:1], 2
	s_add_u32 s36, s8, s36
	s_addc_u32 s37, s9, s37
	s_ashr_i32 s21, s20, 31
	s_load_dword s30, s[16:17], 0x0
	s_load_dword s34, s[18:19], 0x0
	s_load_dword s0, s[36:37], 0x0
	s_lshl_b64 s[36:37], s[20:21], 2
	s_add_u32 s36, s8, s36
	s_addc_u32 s37, s9, s37
	s_load_dword s35, s[36:37], 0x0
	s_add_i32 s28, s28, 1
	s_add_i32 s20, s20, s2
	s_add_u32 s18, s18, s10
	s_addc_u32 s19, s19, s11
	s_add_u32 s16, s16, 4
	s_addc_u32 s17, s17, 0
	v_add_u32_e32 v14, s22, v14
	v_add_u32_e32 v13, 16, v13
	s_cmp_eq_u32 s2, s28
	s_waitcnt vmcnt(2) lgkmcnt(0)
	v_pk_fma_f32 v[16:17], s[30:31], v[18:19], v[6:7] op_sel_hi:[0,1,1]
	v_pk_fma_f32 v[6:7], s[30:31], v[18:19], v[6:7] op_sel_hi:[0,1,1] neg_lo:[1,0,0] neg_hi:[1,0,0]
	s_waitcnt vmcnt(1)
	v_pk_fma_f32 v[16:17], v[24:25], s[34:35], v[16:17] op_sel_hi:[0,1,1] neg_lo:[1,0,0] neg_hi:[1,0,0]
	v_pk_fma_f32 v[6:7], v[24:25], s[34:35], v[6:7] op_sel_hi:[0,1,1]
	v_mov_b32_e32 v7, v17
	v_pk_fma_f32 v[6:7], s[0:1], v[18:19], v[6:7] op_sel:[0,1,0] op_sel_hi:[0,0,1]
	s_waitcnt vmcnt(0)
	v_pk_fma_f32 v[6:7], v[0:1], s[34:35], v[6:7] op_sel:[0,1,0] op_sel_hi:[0,0,1] neg_lo:[1,0,0] neg_hi:[1,0,0]
	s_cbranch_scc0 .LBB13_4
; %bb.5:                                ;   in Loop: Header=BB13_3 Depth=2
	s_add_i32 s27, s27, 1
	s_add_i32 s26, s26, 1
	s_add_u32 s14, s14, 4
	s_addc_u32 s15, s15, 0
	s_cmp_eq_u32 s27, s2
	v_add_u32_e32 v12, 16, v12
	global_store_dword v[2:3], v6, off
	global_store_dword v[4:5], v7, off
	s_cbranch_scc0 .LBB13_3
; %bb.6:                                ;   in Loop: Header=BB13_2 Depth=1
	s_add_i32 s24, s24, 1
	s_add_i32 s3, s3, s2
	s_add_u32 s12, s12, s10
	s_addc_u32 s13, s13, s11
	s_cmp_eq_u32 s24, s2
	v_add_u32_e32 v11, s22, v11
	s_cbranch_scc0 .LBB13_2
.LBB13_7:
	s_endpgm
	.section	.rodata,"a",@progbits
	.p2align	6, 0x0
	.amdhsa_kernel _Z17comm_aosoa_directPK15HIP_vector_typeIfLj2EEPS0_S2_i
		.amdhsa_group_segment_fixed_size 0
		.amdhsa_private_segment_fixed_size 0
		.amdhsa_kernarg_size 28
		.amdhsa_user_sgpr_count 2
		.amdhsa_user_sgpr_dispatch_ptr 0
		.amdhsa_user_sgpr_queue_ptr 0
		.amdhsa_user_sgpr_kernarg_segment_ptr 1
		.amdhsa_user_sgpr_dispatch_id 0
		.amdhsa_user_sgpr_kernarg_preload_length 0
		.amdhsa_user_sgpr_kernarg_preload_offset 0
		.amdhsa_user_sgpr_private_segment_size 0
		.amdhsa_uses_dynamic_stack 0
		.amdhsa_enable_private_segment 0
		.amdhsa_system_sgpr_workgroup_id_x 1
		.amdhsa_system_sgpr_workgroup_id_y 1
		.amdhsa_system_sgpr_workgroup_id_z 0
		.amdhsa_system_sgpr_workgroup_info 0
		.amdhsa_system_vgpr_workitem_id 1
		.amdhsa_next_free_vgpr 26
		.amdhsa_next_free_sgpr 38
		.amdhsa_accum_offset 28
		.amdhsa_reserve_vcc 0
		.amdhsa_float_round_mode_32 0
		.amdhsa_float_round_mode_16_64 0
		.amdhsa_float_denorm_mode_32 3
		.amdhsa_float_denorm_mode_16_64 3
		.amdhsa_dx10_clamp 1
		.amdhsa_ieee_mode 1
		.amdhsa_fp16_overflow 0
		.amdhsa_tg_split 0
		.amdhsa_exception_fp_ieee_invalid_op 0
		.amdhsa_exception_fp_denorm_src 0
		.amdhsa_exception_fp_ieee_div_zero 0
		.amdhsa_exception_fp_ieee_overflow 0
		.amdhsa_exception_fp_ieee_underflow 0
		.amdhsa_exception_fp_ieee_inexact 0
		.amdhsa_exception_int_div_zero 0
	.end_amdhsa_kernel
	.text
.Lfunc_end13:
	.size	_Z17comm_aosoa_directPK15HIP_vector_typeIfLj2EEPS0_S2_i, .Lfunc_end13-_Z17comm_aosoa_directPK15HIP_vector_typeIfLj2EEPS0_S2_i
                                        ; -- End function
	.set _Z17comm_aosoa_directPK15HIP_vector_typeIfLj2EEPS0_S2_i.num_vgpr, 26
	.set _Z17comm_aosoa_directPK15HIP_vector_typeIfLj2EEPS0_S2_i.num_agpr, 0
	.set _Z17comm_aosoa_directPK15HIP_vector_typeIfLj2EEPS0_S2_i.numbered_sgpr, 38
	.set _Z17comm_aosoa_directPK15HIP_vector_typeIfLj2EEPS0_S2_i.num_named_barrier, 0
	.set _Z17comm_aosoa_directPK15HIP_vector_typeIfLj2EEPS0_S2_i.private_seg_size, 0
	.set _Z17comm_aosoa_directPK15HIP_vector_typeIfLj2EEPS0_S2_i.uses_vcc, 0
	.set _Z17comm_aosoa_directPK15HIP_vector_typeIfLj2EEPS0_S2_i.uses_flat_scratch, 0
	.set _Z17comm_aosoa_directPK15HIP_vector_typeIfLj2EEPS0_S2_i.has_dyn_sized_stack, 0
	.set _Z17comm_aosoa_directPK15HIP_vector_typeIfLj2EEPS0_S2_i.has_recursion, 0
	.set _Z17comm_aosoa_directPK15HIP_vector_typeIfLj2EEPS0_S2_i.has_indirect_call, 0
	.section	.AMDGPU.csdata,"",@progbits
; Kernel info:
; codeLenInByte = 544
; TotalNumSgprs: 44
; NumVgprs: 26
; NumAgprs: 0
; TotalNumVgprs: 26
; ScratchSize: 0
; MemoryBound: 0
; FloatMode: 240
; IeeeMode: 1
; LDSByteSize: 0 bytes/workgroup (compile time only)
; SGPRBlocks: 5
; VGPRBlocks: 3
; NumSGPRsForWavesPerEU: 44
; NumVGPRsForWavesPerEU: 26
; AccumOffset: 28
; Occupancy: 8
; WaveLimiterHint : 0
; COMPUTE_PGM_RSRC2:SCRATCH_EN: 0
; COMPUTE_PGM_RSRC2:USER_SGPR: 2
; COMPUTE_PGM_RSRC2:TRAP_HANDLER: 0
; COMPUTE_PGM_RSRC2:TGID_X_EN: 1
; COMPUTE_PGM_RSRC2:TGID_Y_EN: 1
; COMPUTE_PGM_RSRC2:TGID_Z_EN: 0
; COMPUTE_PGM_RSRC2:TIDIG_COMP_CNT: 1
; COMPUTE_PGM_RSRC3_GFX90A:ACCUM_OFFSET: 6
; COMPUTE_PGM_RSRC3_GFX90A:TG_SPLIT: 0
	.text
	.protected	_Z27comm_aosoa_constants_directPK15HIP_vector_typeIfLj2EEPS0_S2_ ; -- Begin function _Z27comm_aosoa_constants_directPK15HIP_vector_typeIfLj2EEPS0_S2_
	.globl	_Z27comm_aosoa_constants_directPK15HIP_vector_typeIfLj2EEPS0_S2_
	.p2align	8
	.type	_Z27comm_aosoa_constants_directPK15HIP_vector_typeIfLj2EEPS0_S2_,@function
_Z27comm_aosoa_constants_directPK15HIP_vector_typeIfLj2EEPS0_S2_: ; @_Z27comm_aosoa_constants_directPK15HIP_vector_typeIfLj2EEPS0_S2_
; %bb.0:
	s_load_dwordx4 s[4:7], s[0:1], 0x0
	s_load_dwordx2 s[12:13], s[0:1], 0x10
	v_bfe_u32 v1, v0, 10, 10
	v_lshl_add_u32 v2, s3, 6, v1
	v_and_b32_e32 v21, 0x3ff, v0
	s_mul_i32 s3, s3, 0xc400
	s_movk_i32 s0, 0x310
	v_or_b32_e32 v0, s3, v21
	v_mad_u32_u24 v23, v1, s0, v0
	s_waitcnt lgkmcnt(0)
	s_add_u32 s14, s12, 0x16c
	v_mul_lo_u32 v20, v2, s0
	v_add_u32_e32 v22, 8, v21
	s_addc_u32 s15, s13, 0
	s_mov_b32 s17, 0
	v_mov_b32_e32 v1, 0
	v_mov_b32_e32 v24, v23
	s_mov_b32 s26, 0
.LBB14_1:                               ; =>This Loop Header: Depth=1
                                        ;     Child Loop BB14_2 Depth 2
	s_mul_i32 s16, s26, 7
	s_lshl_b64 s[0:1], s[16:17], 2
	s_add_u32 s22, s12, s0
	s_mul_i32 s0, s26, 0x70
	v_add_u32_e32 v4, s0, v20
	s_addc_u32 s23, s13, s1
	v_add_u32_e32 v0, v4, v21
	s_lshl_b32 s0, s16, 4
	v_lshl_add_u64 v[2:3], v[0:1], 2, s[4:5]
	v_add_u32_e32 v0, v22, v4
	v_add3_u32 v8, s0, 16, v20
	v_lshl_add_u64 v[4:5], v[0:1], 2, s[4:5]
	v_add_u32_e32 v0, v8, v21
	v_lshl_add_u64 v[6:7], v[0:1], 2, s[4:5]
	v_add_u32_e32 v0, v22, v8
	v_add3_u32 v12, s0, 32, v20
	v_lshl_add_u64 v[8:9], v[0:1], 2, s[4:5]
	v_add_u32_e32 v0, v12, v21
	;; [unrolled: 5-line block ×3, first 2 shown]
	v_lshl_add_u64 v[14:15], v[0:1], 2, s[4:5]
	v_add_u32_e32 v0, v22, v16
	v_lshl_add_u64 v[16:17], v[0:1], 2, s[4:5]
	global_load_dword v25, v[2:3], off
	global_load_dword v26, v[4:5], off
	;; [unrolled: 1-line block ×8, first 2 shown]
	v_add3_u32 v4, s0, 64, v20
	v_add_u32_e32 v0, v4, v21
	s_add_i32 s1, s0, 0x50
	v_lshl_add_u64 v[2:3], v[0:1], 2, s[4:5]
	v_add_u32_e32 v0, v22, v4
	v_add_u32_e32 v8, s1, v20
	v_lshl_add_u64 v[4:5], v[0:1], 2, s[4:5]
	v_add_u32_e32 v0, v8, v21
	s_addk_i32 s0, 0x60
	v_lshl_add_u64 v[6:7], v[0:1], 2, s[4:5]
	v_add_u32_e32 v0, v22, v8
	v_add_u32_e32 v12, s0, v20
	v_lshl_add_u64 v[8:9], v[0:1], 2, s[4:5]
	v_add_u32_e32 v0, v12, v21
	v_lshl_add_u64 v[10:11], v[0:1], 2, s[4:5]
	;; [unrolled: 2-line block ×3, first 2 shown]
	global_load_dword v33, v[2:3], off
	global_load_dword v34, v[4:5], off
	;; [unrolled: 1-line block ×6, first 2 shown]
	s_load_dwordx4 s[0:3], s[22:23], 0x0
	s_load_dwordx2 s[18:19], s[22:23], 0x10
	s_load_dword s16, s[22:23], 0x18
	s_load_dwordx4 s[8:11], s[22:23], 0xc4
	s_load_dwordx2 s[20:21], s[22:23], 0xd4
	s_load_dword s27, s[22:23], 0xdc
	s_mov_b64 s[22:23], s[14:15]
	s_mov_b32 s28, 0
.LBB14_2:                               ;   Parent Loop BB14_1 Depth=1
                                        ; =>  This Inner Loop Header: Depth=2
	v_add_u32_e32 v2, s28, v24
	v_add_u32_e32 v0, 8, v2
	s_add_u32 s24, s22, 0xfffffe94
	v_lshl_add_u64 v[12:13], v[0:1], 2, s[6:7]
	v_add_u32_e32 v0, s28, v23
	v_mov_b32_e32 v3, v1
	s_addc_u32 s25, s23, -1
	v_lshl_add_u64 v[50:51], v[0:1], 2, s[4:5]
	s_load_dword s29, s[22:23], 0x0
	s_load_dword s30, s[24:25], 0x0
	v_lshl_add_u64 v[2:3], v[2:3], 2, s[6:7]
	global_load_dword v39, v[12:13], off
	global_load_dword v52, v[2:3], off
	;; [unrolled: 1-line block ×3, first 2 shown]
	v_mov_b32_e32 v5, v1
	s_add_u32 s24, s22, 0xffffff58
	v_add_u32_e32 v4, 8, v0
	v_mov_b32_e32 v7, v1
	v_mov_b32_e32 v9, v1
	;; [unrolled: 1-line block ×9, first 2 shown]
	s_addc_u32 s25, s23, -1
	v_add_u32_e32 v6, 0x70, v0
	v_add_u32_e32 v8, 0x78, v0
	;; [unrolled: 1-line block ×12, first 2 shown]
	v_lshl_add_u64 v[4:5], v[4:5], 2, s[4:5]
	s_load_dword s31, s[24:25], 0x0
	v_lshl_add_u64 v[6:7], v[6:7], 2, s[4:5]
	v_lshl_add_u64 v[8:9], v[8:9], 2, s[4:5]
	;; [unrolled: 1-line block ×10, first 2 shown]
	global_load_dword v0, v[4:5], off
	global_load_dword v54, v[6:7], off
	global_load_dword v55, v[8:9], off
	global_load_dword v56, v[10:11], off
	global_load_dword v57, v[14:15], off
	global_load_dword v58, v[16:17], off
	global_load_dword v59, v[18:19], off
	global_load_dword v60, v[40:41], off
	global_load_dword v61, v[42:43], off
	global_load_dword v62, v[44:45], off
	v_mov_b32_e32 v47, v1
	v_mov_b32_e32 v49, v1
	v_lshl_add_u64 v[46:47], v[46:47], 2, s[4:5]
	v_lshl_add_u64 v[48:49], v[48:49], 2, s[4:5]
	global_load_dword v4, v[46:47], off
	global_load_dword v5, v[48:49], off
	;; [unrolled: 1-line block ×3, first 2 shown]
	s_add_u32 s24, s22, 0xfffffeb0
	s_addc_u32 s25, s23, -1
	s_load_dword s33, s[24:25], 0x0
	s_add_u32 s24, s22, 0xffffff74
	s_addc_u32 s25, s23, -1
	s_load_dword s34, s[24:25], 0x0
	;; [unrolled: 3-line block ×11, first 2 shown]
	s_add_i32 s28, s28, 16
	s_add_u32 s22, s22, 4
	s_addc_u32 s23, s23, 0
	s_waitcnt vmcnt(13) lgkmcnt(0)
	v_fma_f32 v7, -s0, v53, v39
	v_fmac_f32_e32 v7, s30, v25
	s_cmpk_lg_i32 s28, 0x70
	s_waitcnt vmcnt(12)
	v_fmac_f32_e32 v52, s0, v0
	v_fmac_f32_e32 v7, s8, v0
	v_fma_f32 v0, -v25, s31, v52
	v_fma_f32 v7, -v26, s31, v7
	v_fmac_f32_e32 v0, s8, v53
	v_fma_f32 v0, -s30, v26, v0
	s_waitcnt vmcnt(11)
	v_fma_f32 v7, -s1, v54, v7
	v_fmac_f32_e32 v7, s33, v27
	s_waitcnt vmcnt(10)
	v_fmac_f32_e32 v0, s1, v55
	v_fmac_f32_e32 v7, s9, v55
	v_fma_f32 v0, -v27, s34, v0
	v_fma_f32 v7, -v28, s34, v7
	v_fmac_f32_e32 v0, s9, v54
	v_fma_f32 v0, -s33, v28, v0
	s_waitcnt vmcnt(9)
	v_fma_f32 v7, -s2, v56, v7
	v_fmac_f32_e32 v7, s35, v29
	;; [unrolled: 10-line block ×6, first 2 shown]
	s_waitcnt vmcnt(0)
	v_fmac_f32_e32 v0, s16, v6
	v_fmac_f32_e32 v4, s27, v6
	v_fma_f32 v0, -v37, s29, v0
	v_fma_f32 v4, -v38, s29, v4
	v_fmac_f32_e32 v0, s27, v5
	v_fma_f32 v0, -s24, v38, v0
	global_store_dword v[12:13], v4, off
	global_store_dword v[2:3], v0, off
	s_cbranch_scc1 .LBB14_2
; %bb.3:                                ;   in Loop: Header=BB14_1 Depth=1
	s_add_i32 s26, s26, 1
	s_cmp_eq_u32 s26, 7
	v_add_u32_e32 v24, 0x70, v24
	s_cbranch_scc0 .LBB14_1
; %bb.4:
	s_endpgm
	.section	.rodata,"a",@progbits
	.p2align	6, 0x0
	.amdhsa_kernel _Z27comm_aosoa_constants_directPK15HIP_vector_typeIfLj2EEPS0_S2_
		.amdhsa_group_segment_fixed_size 0
		.amdhsa_private_segment_fixed_size 0
		.amdhsa_kernarg_size 24
		.amdhsa_user_sgpr_count 2
		.amdhsa_user_sgpr_dispatch_ptr 0
		.amdhsa_user_sgpr_queue_ptr 0
		.amdhsa_user_sgpr_kernarg_segment_ptr 1
		.amdhsa_user_sgpr_dispatch_id 0
		.amdhsa_user_sgpr_kernarg_preload_length 0
		.amdhsa_user_sgpr_kernarg_preload_offset 0
		.amdhsa_user_sgpr_private_segment_size 0
		.amdhsa_uses_dynamic_stack 0
		.amdhsa_enable_private_segment 0
		.amdhsa_system_sgpr_workgroup_id_x 1
		.amdhsa_system_sgpr_workgroup_id_y 1
		.amdhsa_system_sgpr_workgroup_id_z 0
		.amdhsa_system_sgpr_workgroup_info 0
		.amdhsa_system_vgpr_workitem_id 1
		.amdhsa_next_free_vgpr 63
		.amdhsa_next_free_sgpr 43
		.amdhsa_accum_offset 64
		.amdhsa_reserve_vcc 0
		.amdhsa_float_round_mode_32 0
		.amdhsa_float_round_mode_16_64 0
		.amdhsa_float_denorm_mode_32 3
		.amdhsa_float_denorm_mode_16_64 3
		.amdhsa_dx10_clamp 1
		.amdhsa_ieee_mode 1
		.amdhsa_fp16_overflow 0
		.amdhsa_tg_split 0
		.amdhsa_exception_fp_ieee_invalid_op 0
		.amdhsa_exception_fp_denorm_src 0
		.amdhsa_exception_fp_ieee_div_zero 0
		.amdhsa_exception_fp_ieee_overflow 0
		.amdhsa_exception_fp_ieee_underflow 0
		.amdhsa_exception_fp_ieee_inexact 0
		.amdhsa_exception_int_div_zero 0
	.end_amdhsa_kernel
	.text
.Lfunc_end14:
	.size	_Z27comm_aosoa_constants_directPK15HIP_vector_typeIfLj2EEPS0_S2_, .Lfunc_end14-_Z27comm_aosoa_constants_directPK15HIP_vector_typeIfLj2EEPS0_S2_
                                        ; -- End function
	.set _Z27comm_aosoa_constants_directPK15HIP_vector_typeIfLj2EEPS0_S2_.num_vgpr, 63
	.set _Z27comm_aosoa_constants_directPK15HIP_vector_typeIfLj2EEPS0_S2_.num_agpr, 0
	.set _Z27comm_aosoa_constants_directPK15HIP_vector_typeIfLj2EEPS0_S2_.numbered_sgpr, 43
	.set _Z27comm_aosoa_constants_directPK15HIP_vector_typeIfLj2EEPS0_S2_.num_named_barrier, 0
	.set _Z27comm_aosoa_constants_directPK15HIP_vector_typeIfLj2EEPS0_S2_.private_seg_size, 0
	.set _Z27comm_aosoa_constants_directPK15HIP_vector_typeIfLj2EEPS0_S2_.uses_vcc, 0
	.set _Z27comm_aosoa_constants_directPK15HIP_vector_typeIfLj2EEPS0_S2_.uses_flat_scratch, 0
	.set _Z27comm_aosoa_constants_directPK15HIP_vector_typeIfLj2EEPS0_S2_.has_dyn_sized_stack, 0
	.set _Z27comm_aosoa_constants_directPK15HIP_vector_typeIfLj2EEPS0_S2_.has_recursion, 0
	.set _Z27comm_aosoa_constants_directPK15HIP_vector_typeIfLj2EEPS0_S2_.has_indirect_call, 0
	.section	.AMDGPU.csdata,"",@progbits
; Kernel info:
; codeLenInByte = 1668
; TotalNumSgprs: 49
; NumVgprs: 63
; NumAgprs: 0
; TotalNumVgprs: 63
; ScratchSize: 0
; MemoryBound: 0
; FloatMode: 240
; IeeeMode: 1
; LDSByteSize: 0 bytes/workgroup (compile time only)
; SGPRBlocks: 6
; VGPRBlocks: 7
; NumSGPRsForWavesPerEU: 49
; NumVGPRsForWavesPerEU: 63
; AccumOffset: 64
; Occupancy: 8
; WaveLimiterHint : 0
; COMPUTE_PGM_RSRC2:SCRATCH_EN: 0
; COMPUTE_PGM_RSRC2:USER_SGPR: 2
; COMPUTE_PGM_RSRC2:TRAP_HANDLER: 0
; COMPUTE_PGM_RSRC2:TGID_X_EN: 1
; COMPUTE_PGM_RSRC2:TGID_Y_EN: 1
; COMPUTE_PGM_RSRC2:TGID_Z_EN: 0
; COMPUTE_PGM_RSRC2:TIDIG_COMP_CNT: 1
; COMPUTE_PGM_RSRC3_GFX90A:ACCUM_OFFSET: 15
; COMPUTE_PGM_RSRC3_GFX90A:TG_SPLIT: 0
	.text
	.protected	_Z32comm_aosoa_constants_direct_permPK15HIP_vector_typeIfLj2EEPS0_S2_ ; -- Begin function _Z32comm_aosoa_constants_direct_permPK15HIP_vector_typeIfLj2EEPS0_S2_
	.globl	_Z32comm_aosoa_constants_direct_permPK15HIP_vector_typeIfLj2EEPS0_S2_
	.p2align	8
	.type	_Z32comm_aosoa_constants_direct_permPK15HIP_vector_typeIfLj2EEPS0_S2_,@function
_Z32comm_aosoa_constants_direct_permPK15HIP_vector_typeIfLj2EEPS0_S2_: ; @_Z32comm_aosoa_constants_direct_permPK15HIP_vector_typeIfLj2EEPS0_S2_
; %bb.0:
	s_load_dwordx4 s[4:7], s[0:1], 0x0
	s_load_dwordx2 s[12:13], s[0:1], 0x10
	v_bfe_u32 v1, v0, 10, 10
	v_lshl_add_u32 v2, s3, 6, v1
	v_and_b32_e32 v31, 0x3ff, v0
	s_mul_i32 s3, s3, 0xc400
	s_movk_i32 s0, 0x310
	v_or_b32_e32 v34, s3, v31
	v_mul_lo_u32 v30, v2, s0
	v_add_u32_e32 v32, 8, v31
	v_mul_u32_u24_e32 v33, 0x310, v1
	s_mov_b32 s24, 0
	s_mov_b64 s[14:15], 0xc4
	v_mov_b32_e32 v1, 0
	v_mov_b32_e32 v35, v34
.LBB15_1:                               ; =>This Loop Header: Depth=1
                                        ;     Child Loop BB15_2 Depth 2
	s_mul_i32 s0, s24, 0x70
	v_add_u32_e32 v26, s0, v30
	v_add_u32_e32 v0, v32, v26
	s_waitcnt lgkmcnt(0)
	v_lshl_add_u64 v[2:3], v[0:1], 2, s[6:7]
	v_add_u32_e32 v0, v26, v31
	v_add_u32_e32 v8, 16, v26
	v_lshl_add_u64 v[4:5], v[0:1], 2, s[6:7]
	v_add_u32_e32 v0, v32, v8
	v_lshl_add_u64 v[6:7], v[0:1], 2, s[6:7]
	v_add_u32_e32 v0, v8, v31
	v_add_u32_e32 v12, 32, v26
	v_lshl_add_u64 v[8:9], v[0:1], 2, s[6:7]
	v_add_u32_e32 v0, v32, v12
	;; [unrolled: 5-line block ×6, first 2 shown]
	v_lshl_add_u64 v[26:27], v[0:1], 2, s[6:7]
	v_add_u32_e32 v0, v28, v31
	v_lshl_add_u64 v[28:29], v[0:1], 2, s[6:7]
	s_mov_b64 s[16:17], 0
	v_mov_b32_e32 v36, v35
	v_mov_b32_e32 v37, v34
	s_mov_b64 s[18:19], s[14:15]
.LBB15_2:                               ;   Parent Loop BB15_1 Depth=1
                                        ; =>  This Inner Loop Header: Depth=2
	v_add_u32_e32 v0, v33, v36
	v_lshl_add_u64 v[38:39], v[0:1], 2, s[4:5]
	v_add_u32_e32 v0, 8, v0
	v_lshl_add_u64 v[42:43], v[0:1], 2, s[4:5]
	v_add_u32_e32 v0, v33, v37
	v_mov_b32_e32 v41, v1
	v_add_u32_e32 v40, 8, v0
	global_load_dword v54, v[2:3], off
	global_load_dword v55, v[4:5], off
	v_lshl_add_u64 v[44:45], v[0:1], 2, s[4:5]
	global_load_dword v38, v[38:39], off
	s_nop 0
	global_load_dword v39, v[42:43], off
	global_load_dword v56, v[44:45], off
	v_lshl_add_u64 v[40:41], v[40:41], 2, s[4:5]
	global_load_dword v57, v[40:41], off
	s_add_u32 s0, s12, s18
	s_addc_u32 s1, s13, s19
	s_add_u32 s2, s0, 0xffffff3c
	s_addc_u32 s3, s1, -1
	v_mov_b32_e32 v41, v1
	v_mov_b32_e32 v49, v1
	v_add_u32_e32 v40, 16, v0
	v_add_u32_e32 v48, 48, v0
	s_add_u32 s20, s12, s16
	v_mov_b32_e32 v43, v1
	v_mov_b32_e32 v45, v1
	;; [unrolled: 1-line block ×5, first 2 shown]
	v_add_u32_e32 v42, 24, v0
	v_add_u32_e32 v44, 32, v0
	;; [unrolled: 1-line block ×5, first 2 shown]
	s_load_dword s26, s[2:3], 0x0
	s_load_dword s25, s[0:1], 0x0
	v_lshl_add_u64 v[40:41], v[40:41], 2, s[4:5]
	v_lshl_add_u64 v[48:49], v[48:49], 2, s[4:5]
	s_addc_u32 s21, s13, s17
	v_lshl_add_u64 v[42:43], v[42:43], 2, s[4:5]
	v_lshl_add_u64 v[44:45], v[44:45], 2, s[4:5]
	;; [unrolled: 1-line block ×5, first 2 shown]
	global_load_dword v58, v[40:41], off
	global_load_dword v59, v[42:43], off
	;; [unrolled: 1-line block ×6, first 2 shown]
                                        ; kill: killed $vgpr44_vgpr45
                                        ; kill: killed $vgpr42_vgpr43
                                        ; kill: killed $vgpr48_vgpr49
                                        ; kill: killed $vgpr46_vgpr47
                                        ; kill: killed $vgpr50_vgpr51
                                        ; kill: killed $vgpr40_vgpr41
	s_nop 0
	global_load_dword v48, v[52:53], off
	s_load_dwordx4 s[0:3], s[20:21], 0x0
	s_load_dwordx2 s[22:23], s[20:21], 0x10
	s_load_dword s27, s[20:21], 0x18
	s_load_dwordx4 s[8:11], s[20:21], 0xc4
	v_mov_b32_e32 v45, v1
	v_add_u32_e32 v44, 0x60, v0
	v_lshl_add_u64 v[44:45], v[44:45], 2, s[4:5]
	s_add_u32 s18, s18, 4
	s_addc_u32 s19, s19, 0
	s_add_u32 s16, s16, 28
	s_addc_u32 s17, s17, 0
	v_add_u32_e32 v36, 16, v36
	v_add_u32_e32 v37, 0x70, v37
	s_cmpk_eq_i32 s16, 0xc4
	s_waitcnt vmcnt(8) lgkmcnt(0)
	v_fma_f32 v40, -s26, v56, v54
	v_fmac_f32_e32 v40, s0, v38
	s_waitcnt vmcnt(7)
	v_fmac_f32_e32 v55, s26, v57
	v_fmac_f32_e32 v40, s25, v57
	v_fma_f32 v41, -v38, s8, v55
	v_fma_f32 v40, -v39, s8, v40
	v_fmac_f32_e32 v41, s25, v56
	global_store_dword v[2:3], v40, off
	v_fma_f32 v40, -v39, s0, v41
	global_store_dword v[4:5], v40, off
	global_load_dword v40, v[6:7], off
	s_nop 0
	global_load_dword v41, v[8:9], off
	s_waitcnt vmcnt(1)
	v_fma_f32 v40, -s26, v58, v40
	s_waitcnt vmcnt(0)
	v_fmac_f32_e32 v41, s26, v59
	v_fmac_f32_e32 v40, s1, v38
	v_fma_f32 v41, -v38, s9, v41
	v_fmac_f32_e32 v40, s25, v59
	v_fmac_f32_e32 v41, s25, v58
	v_fma_f32 v40, -v39, s9, v40
	v_fma_f32 v41, -v39, s1, v41
	global_store_dword v[6:7], v40, off
	global_store_dword v[8:9], v41, off
	global_load_dword v40, v[10:11], off
	s_nop 0
	global_load_dword v41, v[12:13], off
	s_waitcnt vmcnt(1)
	v_fma_f32 v40, -s26, v60, v40
	s_waitcnt vmcnt(0)
	v_fmac_f32_e32 v41, s26, v61
	v_fmac_f32_e32 v40, s2, v38
	v_fma_f32 v41, -v38, s10, v41
	v_fmac_f32_e32 v40, s25, v61
	v_fmac_f32_e32 v41, s25, v60
	v_fma_f32 v40, -v39, s10, v40
	v_fma_f32 v41, -v39, s2, v41
	global_store_dword v[10:11], v40, off
	global_store_dword v[12:13], v41, off
	global_load_dword v42, v[14:15], off
	global_load_dword v43, v[16:17], off
	v_mov_b32_e32 v41, v1
	v_add_u32_e32 v40, 0x48, v0
	v_lshl_add_u64 v[40:41], v[40:41], 2, s[4:5]
	global_load_dword v49, v[40:41], off
	s_waitcnt vmcnt(2)
	v_fma_f32 v40, -s26, v62, v42
	s_waitcnt vmcnt(1)
	v_fmac_f32_e32 v43, s26, v63
	v_fmac_f32_e32 v40, s3, v38
	v_fma_f32 v41, -v38, s11, v43
	v_fmac_f32_e32 v40, s25, v63
	v_fmac_f32_e32 v41, s25, v62
	v_fma_f32 v40, -v39, s11, v40
	v_fma_f32 v41, -v39, s3, v41
	global_store_dword v[14:15], v40, off
	global_store_dword v[16:17], v41, off
	global_load_dword v50, v[18:19], off
	global_load_dword v51, v[20:21], off
	v_mov_b32_e32 v41, v1
	v_add_u32_e32 v40, 0x50, v0
	v_mov_b32_e32 v43, v1
	v_add_u32_e32 v42, 0x58, v0
	v_add_u32_e32 v0, 0x68, v0
	v_lshl_add_u64 v[40:41], v[40:41], 2, s[4:5]
	v_lshl_add_u64 v[42:43], v[42:43], 2, s[4:5]
	;; [unrolled: 1-line block ×3, first 2 shown]
	global_load_dword v0, v[40:41], off
	global_load_dword v52, v[42:43], off
	;; [unrolled: 1-line block ×4, first 2 shown]
	s_load_dwordx2 s[0:1], s[20:21], 0xd4
	s_load_dword s2, s[20:21], 0xdc
	s_waitcnt vmcnt(5)
	v_fma_f32 v40, -s26, v48, v50
	s_waitcnt vmcnt(4)
	v_fmac_f32_e32 v51, s26, v49
	v_fmac_f32_e32 v40, s22, v38
	s_waitcnt lgkmcnt(0)
	v_fma_f32 v41, -v38, s0, v51
	v_fmac_f32_e32 v40, s25, v49
	v_fmac_f32_e32 v41, s25, v48
	v_fma_f32 v40, -v39, s0, v40
	v_fma_f32 v41, -v39, s22, v41
	global_store_dword v[18:19], v40, off
	global_store_dword v[20:21], v41, off
	global_load_dword v40, v[22:23], off
	s_nop 0
	global_load_dword v41, v[24:25], off
	s_waitcnt vmcnt(1)
	v_fma_f32 v40, -s26, v0, v40
	s_waitcnt vmcnt(0)
	v_fmac_f32_e32 v41, s26, v52
	v_fmac_f32_e32 v40, s23, v38
	v_fma_f32 v41, -v38, s1, v41
	v_fmac_f32_e32 v40, s25, v52
	v_fmac_f32_e32 v41, s25, v0
	v_fma_f32 v0, -v39, s1, v40
	v_fma_f32 v40, -v39, s23, v41
	global_store_dword v[22:23], v0, off
	global_store_dword v[24:25], v40, off
	global_load_dword v0, v[26:27], off
	s_nop 0
	global_load_dword v40, v[28:29], off
	s_waitcnt vmcnt(1)
	v_fma_f32 v0, -s26, v53, v0
	s_waitcnt vmcnt(0)
	v_fmac_f32_e32 v40, s26, v54
	v_fmac_f32_e32 v0, s27, v38
	v_fma_f32 v38, -v38, s2, v40
	v_fmac_f32_e32 v0, s25, v54
	v_fmac_f32_e32 v38, s25, v53
	v_fma_f32 v0, -v39, s2, v0
	v_fma_f32 v38, -v39, s27, v38
	global_store_dword v[26:27], v0, off
	global_store_dword v[28:29], v38, off
	s_cbranch_scc0 .LBB15_2
; %bb.3:                                ;   in Loop: Header=BB15_1 Depth=1
	s_add_i32 s24, s24, 1
	s_add_u32 s14, s14, 28
	s_addc_u32 s15, s15, 0
	s_cmp_eq_u32 s24, 7
	v_add_u32_e32 v35, 0x70, v35
	s_cbranch_scc0 .LBB15_1
; %bb.4:
	s_endpgm
	.section	.rodata,"a",@progbits
	.p2align	6, 0x0
	.amdhsa_kernel _Z32comm_aosoa_constants_direct_permPK15HIP_vector_typeIfLj2EEPS0_S2_
		.amdhsa_group_segment_fixed_size 0
		.amdhsa_private_segment_fixed_size 0
		.amdhsa_kernarg_size 24
		.amdhsa_user_sgpr_count 2
		.amdhsa_user_sgpr_dispatch_ptr 0
		.amdhsa_user_sgpr_queue_ptr 0
		.amdhsa_user_sgpr_kernarg_segment_ptr 1
		.amdhsa_user_sgpr_dispatch_id 0
		.amdhsa_user_sgpr_kernarg_preload_length 0
		.amdhsa_user_sgpr_kernarg_preload_offset 0
		.amdhsa_user_sgpr_private_segment_size 0
		.amdhsa_uses_dynamic_stack 0
		.amdhsa_enable_private_segment 0
		.amdhsa_system_sgpr_workgroup_id_x 1
		.amdhsa_system_sgpr_workgroup_id_y 1
		.amdhsa_system_sgpr_workgroup_id_z 0
		.amdhsa_system_sgpr_workgroup_info 0
		.amdhsa_system_vgpr_workitem_id 1
		.amdhsa_next_free_vgpr 64
		.amdhsa_next_free_sgpr 28
		.amdhsa_accum_offset 64
		.amdhsa_reserve_vcc 0
		.amdhsa_float_round_mode_32 0
		.amdhsa_float_round_mode_16_64 0
		.amdhsa_float_denorm_mode_32 3
		.amdhsa_float_denorm_mode_16_64 3
		.amdhsa_dx10_clamp 1
		.amdhsa_ieee_mode 1
		.amdhsa_fp16_overflow 0
		.amdhsa_tg_split 0
		.amdhsa_exception_fp_ieee_invalid_op 0
		.amdhsa_exception_fp_denorm_src 0
		.amdhsa_exception_fp_ieee_div_zero 0
		.amdhsa_exception_fp_ieee_overflow 0
		.amdhsa_exception_fp_ieee_underflow 0
		.amdhsa_exception_fp_ieee_inexact 0
		.amdhsa_exception_int_div_zero 0
	.end_amdhsa_kernel
	.text
.Lfunc_end15:
	.size	_Z32comm_aosoa_constants_direct_permPK15HIP_vector_typeIfLj2EEPS0_S2_, .Lfunc_end15-_Z32comm_aosoa_constants_direct_permPK15HIP_vector_typeIfLj2EEPS0_S2_
                                        ; -- End function
	.set _Z32comm_aosoa_constants_direct_permPK15HIP_vector_typeIfLj2EEPS0_S2_.num_vgpr, 64
	.set _Z32comm_aosoa_constants_direct_permPK15HIP_vector_typeIfLj2EEPS0_S2_.num_agpr, 0
	.set _Z32comm_aosoa_constants_direct_permPK15HIP_vector_typeIfLj2EEPS0_S2_.numbered_sgpr, 28
	.set _Z32comm_aosoa_constants_direct_permPK15HIP_vector_typeIfLj2EEPS0_S2_.num_named_barrier, 0
	.set _Z32comm_aosoa_constants_direct_permPK15HIP_vector_typeIfLj2EEPS0_S2_.private_seg_size, 0
	.set _Z32comm_aosoa_constants_direct_permPK15HIP_vector_typeIfLj2EEPS0_S2_.uses_vcc, 0
	.set _Z32comm_aosoa_constants_direct_permPK15HIP_vector_typeIfLj2EEPS0_S2_.uses_flat_scratch, 0
	.set _Z32comm_aosoa_constants_direct_permPK15HIP_vector_typeIfLj2EEPS0_S2_.has_dyn_sized_stack, 0
	.set _Z32comm_aosoa_constants_direct_permPK15HIP_vector_typeIfLj2EEPS0_S2_.has_recursion, 0
	.set _Z32comm_aosoa_constants_direct_permPK15HIP_vector_typeIfLj2EEPS0_S2_.has_indirect_call, 0
	.section	.AMDGPU.csdata,"",@progbits
; Kernel info:
; codeLenInByte = 1520
; TotalNumSgprs: 34
; NumVgprs: 64
; NumAgprs: 0
; TotalNumVgprs: 64
; ScratchSize: 0
; MemoryBound: 0
; FloatMode: 240
; IeeeMode: 1
; LDSByteSize: 0 bytes/workgroup (compile time only)
; SGPRBlocks: 4
; VGPRBlocks: 7
; NumSGPRsForWavesPerEU: 34
; NumVGPRsForWavesPerEU: 64
; AccumOffset: 64
; Occupancy: 8
; WaveLimiterHint : 1
; COMPUTE_PGM_RSRC2:SCRATCH_EN: 0
; COMPUTE_PGM_RSRC2:USER_SGPR: 2
; COMPUTE_PGM_RSRC2:TRAP_HANDLER: 0
; COMPUTE_PGM_RSRC2:TGID_X_EN: 1
; COMPUTE_PGM_RSRC2:TGID_Y_EN: 1
; COMPUTE_PGM_RSRC2:TGID_Z_EN: 0
; COMPUTE_PGM_RSRC2:TIDIG_COMP_CNT: 1
; COMPUTE_PGM_RSRC3_GFX90A:ACCUM_OFFSET: 15
; COMPUTE_PGM_RSRC3_GFX90A:TG_SPLIT: 0
	.text
	.protected	_Z17comm_manual_aosoaPK15HIP_vector_typeIfLj2EEPS0_S2_i ; -- Begin function _Z17comm_manual_aosoaPK15HIP_vector_typeIfLj2EEPS0_S2_i
	.globl	_Z17comm_manual_aosoaPK15HIP_vector_typeIfLj2EEPS0_S2_i
	.p2align	8
	.type	_Z17comm_manual_aosoaPK15HIP_vector_typeIfLj2EEPS0_S2_i,@function
_Z17comm_manual_aosoaPK15HIP_vector_typeIfLj2EEPS0_S2_i: ; @_Z17comm_manual_aosoaPK15HIP_vector_typeIfLj2EEPS0_S2_i
; %bb.0:
	s_load_dword s8, s[0:1], 0x18
	s_waitcnt lgkmcnt(0)
	s_cmp_lt_i32 s8, 1
	s_cbranch_scc1 .LBB16_7
; %bb.1:
	s_load_dword s3, s[0:1], 0x2c
	s_load_dwordx4 s[4:7], s[0:1], 0x0
	s_load_dwordx2 s[10:11], s[0:1], 0x10
	s_mul_i32 s23, s8, s8
	s_mov_b32 s1, 0
	s_waitcnt lgkmcnt(0)
	s_and_b32 s0, s3, 0xffff
	s_mul_i32 s2, s2, s0
	v_add_u32_e32 v0, s2, v0
	v_mul_lo_u32 v12, s8, v0
	v_mul_lo_u32 v0, s23, v0
	s_mov_b32 s9, s1
	v_lshlrev_b32_e32 v13, 1, v0
	s_lshl_b64 s[2:3], s[8:9], 2
	s_lshl_b32 s9, s8, 1
	v_mov_b32_e32 v14, v13
	s_mov_b64 s[12:13], s[10:11]
	s_mov_b32 s25, s23
	s_mov_b32 s26, 0
.LBB16_2:                               ; =>This Loop Header: Depth=1
                                        ;     Child Loop BB16_3 Depth 2
                                        ;       Child Loop BB16_4 Depth 3
	v_add_u32_e32 v0, s26, v12
	v_mul_lo_u32 v15, v0, s8
	v_mov_b32_e32 v16, v13
	s_mov_b64 s[14:15], s[10:11]
	s_mov_b32 s27, s23
	s_mov_b32 s28, s1
.LBB16_3:                               ;   Parent Loop BB16_2 Depth=1
                                        ; =>  This Loop Header: Depth=2
                                        ;       Child Loop BB16_4 Depth 3
	s_nop 0
	v_mov_b32_e32 v0, 0
	s_mov_b32 s29, 0
	v_mov_b32_e32 v8, v14
	s_mov_b64 s[16:17], s[12:13]
	v_mov_b32_e32 v10, v16
	s_mov_b64 s[18:19], s[14:15]
	s_mov_b32 s20, s27
	v_mov_b32_e32 v1, v0
	v_mov_b32_e32 v2, v0
	;; [unrolled: 1-line block ×7, first 2 shown]
.LBB16_4:                               ;   Parent Loop BB16_2 Depth=1
                                        ;     Parent Loop BB16_3 Depth=2
                                        ; =>    This Inner Loop Header: Depth=3
	v_ashrrev_i32_e32 v11, 31, v10
	v_ashrrev_i32_e32 v9, 31, v8
	v_lshl_add_u64 v[34:35], v[10:11], 4, s[4:5]
	v_lshl_add_u64 v[36:37], v[8:9], 4, s[4:5]
	global_load_dwordx4 v[18:21], v[34:35], off
	global_load_dwordx4 v[22:25], v[36:37], off offset:16
	global_load_dwordx4 v[26:29], v[34:35], off offset:16
	global_load_dwordx4 v[30:33], v[36:37], off
	s_add_i32 s0, s25, s29
	s_lshl_b64 s[30:31], s[0:1], 2
	s_add_u32 s30, s10, s30
	s_addc_u32 s31, s11, s31
	s_ashr_i32 s21, s20, 31
	s_load_dword s24, s[16:17], 0x0
	s_load_dword s22, s[18:19], 0x0
	s_load_dword s0, s[30:31], 0x0
	s_lshl_b64 s[30:31], s[20:21], 2
	s_add_u32 s30, s10, s30
	s_addc_u32 s31, s11, s31
	s_load_dword s30, s[30:31], 0x0
	s_add_i32 s29, s29, 1
	s_add_i32 s20, s20, s8
	s_add_u32 s18, s18, s2
	s_addc_u32 s19, s19, s3
	s_add_u32 s16, s16, 4
	s_addc_u32 s17, s17, 0
	v_add_u32_e32 v10, s9, v10
	v_add_u32_e32 v8, 2, v8
	s_cmp_eq_u32 s8, s29
	s_waitcnt vmcnt(3)
	v_xor_b32_e32 v35, 0x80000000, v21
	v_xor_b32_e32 v34, 0x80000000, v20
	s_waitcnt lgkmcnt(0)
	v_pk_fma_f32 v[0:1], v[18:19], s[24:25], v[0:1] op_sel_hi:[1,0,1] neg_lo:[1,0,0] neg_hi:[1,0,0]
	s_waitcnt vmcnt(1)
	v_pk_fma_f32 v[4:5], s[24:25], v[26:27], v[4:5] op_sel_hi:[0,1,1]
	v_pk_fma_f32 v[6:7], s[24:25], v[28:29], v[6:7] op_sel_hi:[0,1,1]
	s_waitcnt vmcnt(0)
	v_xor_b32_e32 v39, 0x80000000, v33
	v_xor_b32_e32 v38, 0x80000000, v32
	v_pk_fma_f32 v[2:3], v[34:35], s[24:25], v[2:3] op_sel_hi:[1,0,1]
	v_pk_fma_f32 v[0:1], v[30:31], s[22:23], v[0:1] op_sel_hi:[1,0,1]
	;; [unrolled: 1-line block ×3, first 2 shown]
	v_pk_fma_f32 v[4:5], v[30:31], s[30:31], v[4:5] op_sel_hi:[1,0,1] neg_lo:[1,0,0] neg_hi:[1,0,0]
	v_pk_fma_f32 v[2:3], v[32:33], s[22:23], v[2:3] op_sel_hi:[1,0,1]
	v_xor_b32_e32 v37, 0x80000000, v25
	v_xor_b32_e32 v36, 0x80000000, v24
	v_pk_fma_f32 v[0:1], v[26:27], s[0:1], v[0:1] op_sel_hi:[1,0,1]
	v_pk_fma_f32 v[4:5], v[18:19], s[0:1], v[4:5] op_sel_hi:[1,0,1]
	;; [unrolled: 1-line block ×4, first 2 shown]
	v_pk_fma_f32 v[0:1], v[22:23], s[30:31], v[0:1] op_sel_hi:[1,0,1] neg_lo:[1,0,0] neg_hi:[1,0,0]
	v_pk_fma_f32 v[6:7], s[22:23], v[24:25], v[6:7] op_sel_hi:[0,1,1] neg_lo:[1,0,0] neg_hi:[1,0,0]
	;; [unrolled: 1-line block ×3, first 2 shown]
	v_pk_fma_f32 v[2:3], v[36:37], s[30:31], v[2:3] op_sel_hi:[1,0,1]
	s_cbranch_scc0 .LBB16_4
; %bb.5:                                ;   in Loop: Header=BB16_3 Depth=2
	v_add_lshl_u32 v8, s28, v15, 1
	v_ashrrev_i32_e32 v9, 31, v8
	v_lshl_add_u64 v[22:23], v[8:9], 4, s[6:7]
	global_load_dwordx4 v[8:11], v[22:23], off
	global_load_dwordx4 v[18:21], v[22:23], off offset:16
	s_add_i32 s28, s28, 1
	s_add_i32 s27, s27, 1
	s_add_u32 s14, s14, 4
	s_addc_u32 s15, s15, 0
	s_cmp_eq_u32 s28, s8
	v_add_u32_e32 v16, 2, v16
	s_waitcnt vmcnt(1)
	v_pk_add_f32 v[6:7], v[6:7], v[10:11]
	v_pk_add_f32 v[4:5], v[4:5], v[8:9]
	s_waitcnt vmcnt(0)
	v_pk_add_f32 v[2:3], v[2:3], v[20:21]
	v_pk_add_f32 v[0:1], v[0:1], v[18:19]
	global_store_dwordx4 v[22:23], v[4:7], off
	global_store_dwordx4 v[22:23], v[0:3], off offset:16
	s_cbranch_scc0 .LBB16_3
; %bb.6:                                ;   in Loop: Header=BB16_2 Depth=1
	s_add_i32 s26, s26, 1
	s_add_i32 s25, s25, s8
	s_add_u32 s12, s12, s2
	s_addc_u32 s13, s13, s3
	s_cmp_eq_u32 s26, s8
	v_add_u32_e32 v14, s9, v14
	s_cbranch_scc0 .LBB16_2
.LBB16_7:
	s_endpgm
	.section	.rodata,"a",@progbits
	.p2align	6, 0x0
	.amdhsa_kernel _Z17comm_manual_aosoaPK15HIP_vector_typeIfLj2EEPS0_S2_i
		.amdhsa_group_segment_fixed_size 0
		.amdhsa_private_segment_fixed_size 0
		.amdhsa_kernarg_size 288
		.amdhsa_user_sgpr_count 2
		.amdhsa_user_sgpr_dispatch_ptr 0
		.amdhsa_user_sgpr_queue_ptr 0
		.amdhsa_user_sgpr_kernarg_segment_ptr 1
		.amdhsa_user_sgpr_dispatch_id 0
		.amdhsa_user_sgpr_kernarg_preload_length 0
		.amdhsa_user_sgpr_kernarg_preload_offset 0
		.amdhsa_user_sgpr_private_segment_size 0
		.amdhsa_uses_dynamic_stack 0
		.amdhsa_enable_private_segment 0
		.amdhsa_system_sgpr_workgroup_id_x 1
		.amdhsa_system_sgpr_workgroup_id_y 0
		.amdhsa_system_sgpr_workgroup_id_z 0
		.amdhsa_system_sgpr_workgroup_info 0
		.amdhsa_system_vgpr_workitem_id 0
		.amdhsa_next_free_vgpr 40
		.amdhsa_next_free_sgpr 32
		.amdhsa_accum_offset 40
		.amdhsa_reserve_vcc 0
		.amdhsa_float_round_mode_32 0
		.amdhsa_float_round_mode_16_64 0
		.amdhsa_float_denorm_mode_32 3
		.amdhsa_float_denorm_mode_16_64 3
		.amdhsa_dx10_clamp 1
		.amdhsa_ieee_mode 1
		.amdhsa_fp16_overflow 0
		.amdhsa_tg_split 0
		.amdhsa_exception_fp_ieee_invalid_op 0
		.amdhsa_exception_fp_denorm_src 0
		.amdhsa_exception_fp_ieee_div_zero 0
		.amdhsa_exception_fp_ieee_overflow 0
		.amdhsa_exception_fp_ieee_underflow 0
		.amdhsa_exception_fp_ieee_inexact 0
		.amdhsa_exception_int_div_zero 0
	.end_amdhsa_kernel
	.text
.Lfunc_end16:
	.size	_Z17comm_manual_aosoaPK15HIP_vector_typeIfLj2EEPS0_S2_i, .Lfunc_end16-_Z17comm_manual_aosoaPK15HIP_vector_typeIfLj2EEPS0_S2_i
                                        ; -- End function
	.set _Z17comm_manual_aosoaPK15HIP_vector_typeIfLj2EEPS0_S2_i.num_vgpr, 40
	.set _Z17comm_manual_aosoaPK15HIP_vector_typeIfLj2EEPS0_S2_i.num_agpr, 0
	.set _Z17comm_manual_aosoaPK15HIP_vector_typeIfLj2EEPS0_S2_i.numbered_sgpr, 32
	.set _Z17comm_manual_aosoaPK15HIP_vector_typeIfLj2EEPS0_S2_i.num_named_barrier, 0
	.set _Z17comm_manual_aosoaPK15HIP_vector_typeIfLj2EEPS0_S2_i.private_seg_size, 0
	.set _Z17comm_manual_aosoaPK15HIP_vector_typeIfLj2EEPS0_S2_i.uses_vcc, 0
	.set _Z17comm_manual_aosoaPK15HIP_vector_typeIfLj2EEPS0_S2_i.uses_flat_scratch, 0
	.set _Z17comm_manual_aosoaPK15HIP_vector_typeIfLj2EEPS0_S2_i.has_dyn_sized_stack, 0
	.set _Z17comm_manual_aosoaPK15HIP_vector_typeIfLj2EEPS0_S2_i.has_recursion, 0
	.set _Z17comm_manual_aosoaPK15HIP_vector_typeIfLj2EEPS0_S2_i.has_indirect_call, 0
	.section	.AMDGPU.csdata,"",@progbits
; Kernel info:
; codeLenInByte = 712
; TotalNumSgprs: 38
; NumVgprs: 40
; NumAgprs: 0
; TotalNumVgprs: 40
; ScratchSize: 0
; MemoryBound: 0
; FloatMode: 240
; IeeeMode: 1
; LDSByteSize: 0 bytes/workgroup (compile time only)
; SGPRBlocks: 4
; VGPRBlocks: 4
; NumSGPRsForWavesPerEU: 38
; NumVGPRsForWavesPerEU: 40
; AccumOffset: 40
; Occupancy: 8
; WaveLimiterHint : 0
; COMPUTE_PGM_RSRC2:SCRATCH_EN: 0
; COMPUTE_PGM_RSRC2:USER_SGPR: 2
; COMPUTE_PGM_RSRC2:TRAP_HANDLER: 0
; COMPUTE_PGM_RSRC2:TGID_X_EN: 1
; COMPUTE_PGM_RSRC2:TGID_Y_EN: 0
; COMPUTE_PGM_RSRC2:TGID_Z_EN: 0
; COMPUTE_PGM_RSRC2:TIDIG_COMP_CNT: 0
; COMPUTE_PGM_RSRC3_GFX90A:ACCUM_OFFSET: 9
; COMPUTE_PGM_RSRC3_GFX90A:TG_SPLIT: 0
	.text
	.protected	_Z27comm_manual_aosoa_constantsPK15HIP_vector_typeIfLj2EEPS0_S2_ ; -- Begin function _Z27comm_manual_aosoa_constantsPK15HIP_vector_typeIfLj2EEPS0_S2_
	.globl	_Z27comm_manual_aosoa_constantsPK15HIP_vector_typeIfLj2EEPS0_S2_
	.p2align	8
	.type	_Z27comm_manual_aosoa_constantsPK15HIP_vector_typeIfLj2EEPS0_S2_,@function
_Z27comm_manual_aosoa_constantsPK15HIP_vector_typeIfLj2EEPS0_S2_: ; @_Z27comm_manual_aosoa_constantsPK15HIP_vector_typeIfLj2EEPS0_S2_
; %bb.0:
	s_load_dword s3, s[0:1], 0x24
	s_load_dwordx4 s[4:7], s[0:1], 0x0
	s_load_dwordx2 s[12:13], s[0:1], 0x10
	s_mov_b32 s15, 0
	s_mov_b32 s33, 0
	s_waitcnt lgkmcnt(0)
	s_and_b32 s0, s3, 0xffff
	s_mul_i32 s2, s2, s0
	v_add_u32_e32 v0, s2, v0
	s_movk_i32 s0, 0x62
	v_mul_lo_u32 v56, v0, s0
	v_ashrrev_i32_e32 v57, 31, v56
	v_lshl_add_u64 v[0:1], v[56:57], 4, s[4:5]
	v_add_u32_e32 v72, 0x54, v56
	v_lshl_add_u64 v[58:59], v[0:1], 0, 16
	s_mov_b32 s71, 0
.LBB17_1:                               ; =>This Loop Header: Depth=1
                                        ;     Child Loop BB17_2 Depth 2
	s_mul_i32 s14, s71, 7
	s_lshl_b64 s[0:1], s[14:15], 2
	s_add_u32 s26, s12, s0
	s_addc_u32 s27, s13, s1
	v_mad_u64_u32 v[0:1], s[0:1], s71, 14, v[56:57]
	v_ashrrev_i32_e32 v1, 31, v0
	v_lshl_add_u64 v[8:9], v[0:1], 4, s[4:5]
	s_lshl_b32 s0, s14, 1
	global_load_dwordx4 v[0:3], v[8:9], off offset:16
	global_load_dwordx4 v[4:7], v[8:9], off
	v_add3_u32 v8, s0, 2, v56
	v_ashrrev_i32_e32 v9, 31, v8
	v_lshl_add_u64 v[16:17], v[8:9], 4, s[4:5]
	global_load_dwordx4 v[8:11], v[16:17], off offset:16
	global_load_dwordx4 v[12:15], v[16:17], off
	v_add3_u32 v16, s0, 4, v56
	v_ashrrev_i32_e32 v17, 31, v16
	v_lshl_add_u64 v[24:25], v[16:17], 4, s[4:5]
	;; [unrolled: 5-line block ×6, first 2 shown]
	global_load_dwordx4 v[48:51], v[60:61], off offset:16
	global_load_dwordx4 v[52:55], v[60:61], off
	s_load_dwordx4 s[0:3], s[26:27], 0x0
	s_load_dwordx2 s[16:17], s[26:27], 0x10
	s_load_dword s20, s[26:27], 0x18
	s_load_dwordx4 s[8:11], s[26:27], 0xc4
	s_mov_b64 s[66:67], 0
	v_mov_b64_e32 v[60:61], v[58:59]
	s_waitcnt lgkmcnt(0)
	s_mov_b32 s18, s0
	s_mov_b32 s19, s0
	;; [unrolled: 1-line block ×4, first 2 shown]
	s_load_dword s0, s[26:27], 0xdc
	s_load_dwordx2 s[24:25], s[26:27], 0xd4
	s_mov_b32 s26, s8
	s_mov_b32 s27, s8
	;; [unrolled: 1-line block ×29, first 2 shown]
	s_waitcnt lgkmcnt(0)
	s_mov_b32 s54, s24
	s_mov_b32 s55, s24
	;; [unrolled: 1-line block ×16, first 2 shown]
	v_mov_b32_e32 v62, v72
.LBB17_2:                               ;   Parent Loop BB17_1 Depth=1
                                        ; =>  This Inner Loop Header: Depth=2
	global_load_dwordx4 v[64:67], v[60:61], off
	global_load_dwordx4 v[68:71], v[60:61], off offset:-16
	s_add_u32 s68, s12, s66
	s_addc_u32 s69, s13, s67
	s_load_dword s72, s[68:69], 0x0
	s_load_dword s70, s[68:69], 0x1c
	;; [unrolled: 1-line block ×4, first 2 shown]
	s_waitcnt vmcnt(15)
	v_xor_b32_e32 v79, 0x80000000, v3
	v_xor_b32_e32 v78, 0x80000000, v2
	v_ashrrev_i32_e32 v63, 31, v62
	v_add_u32_e32 v57, s33, v62
	s_add_u32 s66, s66, 4
	s_addc_u32 s67, s67, 0
	v_lshl_add_u64 v[60:61], v[60:61], 0, 32
	s_cmp_lg_u32 s66, 28
	s_waitcnt vmcnt(0)
	v_pk_fma_f32 v[76:77], v[68:69], s[18:19], 0 op_sel_hi:[1,1,0] neg_lo:[1,0,0] neg_hi:[1,0,0]
	v_xor_b32_e32 v75, 0x80000000, v71
	v_xor_b32_e32 v74, 0x80000000, v70
	s_waitcnt lgkmcnt(0)
	v_pk_fma_f32 v[76:77], v[4:5], s[72:73], v[76:77] op_sel_hi:[1,0,1]
	v_pk_fma_f32 v[74:75], v[74:75], s[22:23], 0 op_sel_hi:[1,1,0]
	v_pk_fma_f32 v[76:77], v[64:65], s[26:27], v[76:77]
	v_pk_fma_f32 v[64:65], s[18:19], v[64:65], 0 op_sel_hi:[1,1,0]
	v_pk_fma_f32 v[74:75], v[6:7], s[72:73], v[74:75] op_sel_hi:[1,0,1]
	v_pk_fma_f32 v[64:65], v[4:5], s[74:75], v[64:65] op_sel_hi:[1,0,1] neg_lo:[1,0,0] neg_hi:[1,0,0]
	v_pk_fma_f32 v[74:75], v[66:67], s[28:29], v[74:75]
	v_pk_fma_f32 v[64:65], v[68:69], s[26:27], v[64:65]
	v_pk_fma_f32 v[74:75], v[78:79], s[74:75], v[74:75] op_sel_hi:[1,0,1]
	v_pk_fma_f32 v[66:67], s[22:23], v[66:67], 0 op_sel_hi:[1,1,0]
	v_xor_b32_e32 v79, 0x80000000, v7
	v_xor_b32_e32 v78, 0x80000000, v6
	v_pk_fma_f32 v[80:81], s[72:73], v[0:1], v[64:65] op_sel_hi:[0,1,1] neg_lo:[1,0,0] neg_hi:[1,0,0]
	v_add_u32_e32 v64, 0xffffffba, v62
	v_pk_fma_f32 v[66:67], v[78:79], s[74:75], v[66:67] op_sel_hi:[1,0,1]
	v_ashrrev_i32_e32 v65, 31, v64
	v_pk_fma_f32 v[66:67], v[70:71], s[28:29], v[66:67]
	v_lshl_add_u64 v[68:69], v[64:65], 4, s[4:5]
	v_pk_fma_f32 v[78:79], s[72:73], v[2:3], v[66:67] op_sel_hi:[0,1,1] neg_lo:[1,0,0] neg_hi:[1,0,0]
	global_load_dwordx4 v[64:67], v[68:69], off offset:16
	s_nop 0
	global_load_dwordx4 v[68:71], v[68:69], off
	s_load_dword s72, s[68:69], 0xe0
	v_pk_fma_f32 v[76:77], v[0:1], s[74:75], v[76:77] op_sel_hi:[1,0,1] neg_lo:[1,0,0] neg_hi:[1,0,0]
	s_waitcnt vmcnt(0)
	v_xor_b32_e32 v83, 0x80000000, v71
	v_pk_fma_f32 v[76:77], v[68:69], s[30:31], v[76:77] neg_lo:[1,0,0] neg_hi:[1,0,0]
	v_xor_b32_e32 v82, 0x80000000, v70
	v_pk_fma_f32 v[76:77], v[12:13], s[70:71], v[76:77] op_sel_hi:[1,0,1]
	v_pk_fma_f32 v[74:75], v[82:83], s[34:35], v[74:75]
	v_pk_fma_f32 v[76:77], v[64:65], s[36:37], v[76:77]
	v_pk_fma_f32 v[64:65], s[30:31], v[64:65], v[80:81]
	v_pk_fma_f32 v[74:75], v[14:15], s[70:71], v[74:75] op_sel_hi:[1,0,1]
	s_waitcnt lgkmcnt(0)
	v_pk_fma_f32 v[64:65], v[12:13], s[72:73], v[64:65] op_sel_hi:[1,0,1] neg_lo:[1,0,0] neg_hi:[1,0,0]
	v_pk_fma_f32 v[74:75], v[66:67], s[8:9], v[74:75]
	v_pk_fma_f32 v[64:65], v[68:69], s[36:37], v[64:65]
	;; [unrolled: 1-line block ×3, first 2 shown]
	v_xor_b32_e32 v79, 0x80000000, v15
	v_xor_b32_e32 v78, 0x80000000, v14
	v_pk_fma_f32 v[80:81], s[70:71], v[8:9], v[64:65] op_sel_hi:[0,1,1] neg_lo:[1,0,0] neg_hi:[1,0,0]
	v_subrev_u32_e32 v64, 56, v62
	v_pk_fma_f32 v[66:67], v[78:79], s[72:73], v[66:67] op_sel_hi:[1,0,1]
	v_ashrrev_i32_e32 v65, 31, v64
	v_pk_fma_f32 v[66:67], v[70:71], s[8:9], v[66:67]
	v_lshl_add_u64 v[68:69], v[64:65], 4, s[4:5]
	v_pk_fma_f32 v[78:79], s[70:71], v[10:11], v[66:67] op_sel_hi:[0,1,1] neg_lo:[1,0,0] neg_hi:[1,0,0]
	global_load_dwordx4 v[64:67], v[68:69], off offset:16
	s_nop 0
	global_load_dwordx4 v[68:71], v[68:69], off
	s_load_dword s70, s[68:69], 0xfc
	v_pk_fma_f32 v[76:77], v[8:9], s[72:73], v[76:77] op_sel_hi:[1,0,1] neg_lo:[1,0,0] neg_hi:[1,0,0]
	v_xor_b32_e32 v83, 0x80000000, v11
	v_xor_b32_e32 v82, 0x80000000, v10
	v_pk_fma_f32 v[74:75], v[82:83], s[72:73], v[74:75] op_sel_hi:[1,0,1]
	s_waitcnt vmcnt(0)
	v_pk_fma_f32 v[76:77], v[68:69], s[38:39], v[76:77] neg_lo:[1,0,0] neg_hi:[1,0,0]
	s_nop 0
	v_pk_fma_f32 v[76:77], v[20:21], s[14:15], v[76:77] op_sel_hi:[1,0,1]
	v_xor_b32_e32 v83, 0x80000000, v71
	v_xor_b32_e32 v82, 0x80000000, v70
	v_pk_fma_f32 v[76:77], v[64:65], s[42:43], v[76:77]
	v_pk_fma_f32 v[64:65], s[38:39], v[64:65], v[80:81]
	;; [unrolled: 1-line block ×3, first 2 shown]
	s_waitcnt lgkmcnt(0)
	v_pk_fma_f32 v[64:65], v[20:21], s[70:71], v[64:65] op_sel_hi:[1,0,1] neg_lo:[1,0,0] neg_hi:[1,0,0]
	v_pk_fma_f32 v[74:75], v[22:23], s[14:15], v[74:75] op_sel_hi:[1,0,1]
	v_pk_fma_f32 v[64:65], v[68:69], s[42:43], v[64:65]
	v_pk_fma_f32 v[74:75], v[66:67], s[44:45], v[74:75]
	v_pk_fma_f32 v[66:67], s[40:41], v[66:67], v[78:79]
	v_xor_b32_e32 v79, 0x80000000, v23
	v_xor_b32_e32 v78, 0x80000000, v22
	v_pk_fma_f32 v[80:81], s[14:15], v[16:17], v[64:65] op_sel_hi:[0,1,1] neg_lo:[1,0,0] neg_hi:[1,0,0]
	v_subrev_u32_e32 v64, 42, v62
	v_pk_fma_f32 v[66:67], v[78:79], s[70:71], v[66:67] op_sel_hi:[1,0,1]
	v_ashrrev_i32_e32 v65, 31, v64
	v_pk_fma_f32 v[66:67], v[70:71], s[44:45], v[66:67]
	v_lshl_add_u64 v[68:69], v[64:65], 4, s[4:5]
	v_pk_fma_f32 v[78:79], s[14:15], v[18:19], v[66:67] op_sel_hi:[0,1,1] neg_lo:[1,0,0] neg_hi:[1,0,0]
	global_load_dwordx4 v[64:67], v[68:69], off offset:16
	s_nop 0
	global_load_dwordx4 v[68:71], v[68:69], off
	s_load_dword s14, s[68:69], 0x54
	v_xor_b32_e32 v83, 0x80000000, v19
	v_xor_b32_e32 v82, 0x80000000, v18
	v_pk_fma_f32 v[74:75], v[82:83], s[70:71], v[74:75] op_sel_hi:[1,0,1]
	v_pk_fma_f32 v[76:77], v[16:17], s[70:71], v[76:77] op_sel_hi:[1,0,1] neg_lo:[1,0,0] neg_hi:[1,0,0]
	s_load_dword s70, s[68:69], 0x118
	s_waitcnt vmcnt(0)
	v_pk_fma_f32 v[76:77], v[68:69], s[46:47], v[76:77] neg_lo:[1,0,0] neg_hi:[1,0,0]
	s_waitcnt lgkmcnt(0)
	v_pk_fma_f32 v[76:77], v[28:29], s[14:15], v[76:77] op_sel_hi:[1,0,1]
	v_xor_b32_e32 v83, 0x80000000, v71
	v_xor_b32_e32 v82, 0x80000000, v70
	v_pk_fma_f32 v[76:77], v[64:65], s[48:49], v[76:77]
	v_pk_fma_f32 v[64:65], s[46:47], v[64:65], v[80:81]
	v_pk_fma_f32 v[74:75], v[82:83], s[2:3], v[74:75]
	v_pk_fma_f32 v[64:65], v[28:29], s[70:71], v[64:65] op_sel_hi:[1,0,1] neg_lo:[1,0,0] neg_hi:[1,0,0]
	v_pk_fma_f32 v[74:75], v[30:31], s[14:15], v[74:75] op_sel_hi:[1,0,1]
	v_pk_fma_f32 v[64:65], v[68:69], s[48:49], v[64:65]
	v_pk_fma_f32 v[74:75], v[66:67], s[10:11], v[74:75]
	;; [unrolled: 1-line block ×3, first 2 shown]
	v_xor_b32_e32 v79, 0x80000000, v31
	v_xor_b32_e32 v78, 0x80000000, v30
	v_pk_fma_f32 v[80:81], s[14:15], v[24:25], v[64:65] op_sel_hi:[0,1,1] neg_lo:[1,0,0] neg_hi:[1,0,0]
	v_subrev_u32_e32 v64, 28, v62
	v_pk_fma_f32 v[66:67], v[78:79], s[70:71], v[66:67] op_sel_hi:[1,0,1]
	v_ashrrev_i32_e32 v65, 31, v64
	v_pk_fma_f32 v[66:67], v[70:71], s[10:11], v[66:67]
	v_lshl_add_u64 v[68:69], v[64:65], 4, s[4:5]
	v_pk_fma_f32 v[78:79], s[14:15], v[26:27], v[66:67] op_sel_hi:[0,1,1] neg_lo:[1,0,0] neg_hi:[1,0,0]
	global_load_dwordx4 v[64:67], v[68:69], off offset:16
	s_nop 0
	global_load_dwordx4 v[68:71], v[68:69], off
	s_load_dword s14, s[68:69], 0x70
	v_xor_b32_e32 v83, 0x80000000, v27
	v_xor_b32_e32 v82, 0x80000000, v26
	v_pk_fma_f32 v[74:75], v[82:83], s[70:71], v[74:75] op_sel_hi:[1,0,1]
	v_pk_fma_f32 v[76:77], v[24:25], s[70:71], v[76:77] op_sel_hi:[1,0,1] neg_lo:[1,0,0] neg_hi:[1,0,0]
	s_load_dword s70, s[68:69], 0x134
	s_waitcnt vmcnt(0)
	v_pk_fma_f32 v[76:77], v[68:69], s[50:51], v[76:77] neg_lo:[1,0,0] neg_hi:[1,0,0]
	s_waitcnt lgkmcnt(0)
	v_pk_fma_f32 v[76:77], v[36:37], s[14:15], v[76:77] op_sel_hi:[1,0,1]
	v_xor_b32_e32 v83, 0x80000000, v71
	v_xor_b32_e32 v82, 0x80000000, v70
	v_pk_fma_f32 v[76:77], v[64:65], s[54:55], v[76:77]
	v_pk_fma_f32 v[64:65], s[50:51], v[64:65], v[80:81]
	;; [unrolled: 1-line block ×3, first 2 shown]
	v_pk_fma_f32 v[64:65], v[36:37], s[70:71], v[64:65] op_sel_hi:[1,0,1] neg_lo:[1,0,0] neg_hi:[1,0,0]
	v_pk_fma_f32 v[74:75], v[38:39], s[14:15], v[74:75] op_sel_hi:[1,0,1]
	v_pk_fma_f32 v[64:65], v[68:69], s[54:55], v[64:65]
	v_pk_fma_f32 v[74:75], v[66:67], s[56:57], v[74:75]
	;; [unrolled: 1-line block ×3, first 2 shown]
	v_xor_b32_e32 v79, 0x80000000, v39
	v_xor_b32_e32 v78, 0x80000000, v38
	v_pk_fma_f32 v[80:81], s[14:15], v[32:33], v[64:65] op_sel_hi:[0,1,1] neg_lo:[1,0,0] neg_hi:[1,0,0]
	v_add_u32_e32 v64, -14, v62
	v_pk_fma_f32 v[66:67], v[78:79], s[70:71], v[66:67] op_sel_hi:[1,0,1]
	v_ashrrev_i32_e32 v65, 31, v64
	v_pk_fma_f32 v[66:67], v[70:71], s[56:57], v[66:67]
	v_lshl_add_u64 v[68:69], v[64:65], 4, s[4:5]
	v_pk_fma_f32 v[78:79], s[14:15], v[34:35], v[66:67] op_sel_hi:[0,1,1] neg_lo:[1,0,0] neg_hi:[1,0,0]
	global_load_dwordx4 v[64:67], v[68:69], off offset:16
	s_nop 0
	global_load_dwordx4 v[68:71], v[68:69], off
	s_load_dword s14, s[68:69], 0x8c
	v_xor_b32_e32 v83, 0x80000000, v35
	v_xor_b32_e32 v82, 0x80000000, v34
	v_pk_fma_f32 v[74:75], v[82:83], s[70:71], v[74:75] op_sel_hi:[1,0,1]
	v_pk_fma_f32 v[76:77], v[32:33], s[70:71], v[76:77] op_sel_hi:[1,0,1] neg_lo:[1,0,0] neg_hi:[1,0,0]
	s_load_dword s70, s[68:69], 0x150
	s_waitcnt vmcnt(0)
	v_xor_b32_e32 v83, 0x80000000, v71
	v_xor_b32_e32 v82, 0x80000000, v70
	v_pk_fma_f32 v[76:77], v[68:69], s[16:17], v[76:77] neg_lo:[1,0,0] neg_hi:[1,0,0]
	v_pk_fma_f32 v[74:75], v[82:83], s[58:59], v[74:75]
	s_waitcnt lgkmcnt(0)
	v_pk_fma_f32 v[76:77], v[44:45], s[14:15], v[76:77] op_sel_hi:[1,0,1]
	v_pk_fma_f32 v[74:75], v[46:47], s[14:15], v[74:75] op_sel_hi:[1,0,1]
	v_pk_fma_f32 v[76:77], v[64:65], s[24:25], v[76:77]
	v_pk_fma_f32 v[64:65], s[16:17], v[64:65], v[80:81]
	;; [unrolled: 1-line block ×3, first 2 shown]
	v_xor_b32_e32 v83, 0x80000000, v43
	v_xor_b32_e32 v82, 0x80000000, v42
	v_pk_fma_f32 v[64:65], v[44:45], s[70:71], v[64:65] op_sel_hi:[1,0,1] neg_lo:[1,0,0] neg_hi:[1,0,0]
	v_pk_fma_f32 v[82:83], v[82:83], s[70:71], v[74:75] op_sel_hi:[1,0,1]
	v_pk_fma_f32 v[66:67], s[58:59], v[66:67], v[78:79]
	v_xor_b32_e32 v75, 0x80000000, v47
	v_xor_b32_e32 v74, 0x80000000, v46
	v_pk_fma_f32 v[64:65], v[68:69], s[24:25], v[64:65]
	v_pk_fma_f32 v[66:67], v[74:75], s[70:71], v[66:67] op_sel_hi:[1,0,1]
	v_pk_fma_f32 v[80:81], s[14:15], v[40:41], v[64:65] op_sel_hi:[0,1,1] neg_lo:[1,0,0] neg_hi:[1,0,0]
	v_lshl_add_u64 v[64:65], v[62:63], 4, s[4:5]
	v_pk_fma_f32 v[84:85], v[40:41], s[70:71], v[76:77] op_sel_hi:[1,0,1] neg_lo:[1,0,0] neg_hi:[1,0,0]
	v_pk_fma_f32 v[66:67], v[70:71], s[60:61], v[66:67]
	global_load_dwordx4 v[68:71], v[64:65], off offset:16
	global_load_dwordx4 v[74:77], v[64:65], off
	v_pk_fma_f32 v[78:79], s[14:15], v[42:43], v[66:67] op_sel_hi:[0,1,1] neg_lo:[1,0,0] neg_hi:[1,0,0]
	s_load_dword s14, s[68:69], 0xa8
	v_add_u32_e32 v62, 2, v62
	s_load_dword s68, s[68:69], 0x16c
	s_waitcnt vmcnt(0)
	v_xor_b32_e32 v65, 0x80000000, v77
	v_xor_b32_e32 v64, 0x80000000, v76
	v_pk_fma_f32 v[64:65], v[64:65], s[62:63], v[82:83]
	v_pk_fma_f32 v[66:67], v[74:75], s[20:21], v[84:85] neg_lo:[1,0,0] neg_hi:[1,0,0]
	s_waitcnt lgkmcnt(0)
	v_pk_fma_f32 v[64:65], v[54:55], s[14:15], v[64:65] op_sel_hi:[1,0,1]
	v_pk_fma_f32 v[66:67], v[52:53], s[14:15], v[66:67] op_sel_hi:[1,0,1]
	v_pk_fma_f32 v[64:65], v[70:71], s[64:65], v[64:65]
	v_pk_fma_f32 v[66:67], v[68:69], s[0:1], v[66:67]
	;; [unrolled: 1-line block ×4, first 2 shown]
	v_xor_b32_e32 v79, 0x80000000, v55
	v_xor_b32_e32 v78, 0x80000000, v54
	v_pk_fma_f32 v[70:71], v[78:79], s[68:69], v[70:71] op_sel_hi:[1,0,1]
	v_pk_fma_f32 v[68:69], v[52:53], s[68:69], v[68:69] op_sel_hi:[1,0,1] neg_lo:[1,0,0] neg_hi:[1,0,0]
	v_pk_fma_f32 v[70:71], v[76:77], s[64:65], v[70:71]
	v_pk_fma_f32 v[74:75], v[74:75], s[0:1], v[68:69]
	v_pk_fma_f32 v[68:69], s[14:15], v[50:51], v[70:71] op_sel_hi:[0,1,1] neg_lo:[1,0,0] neg_hi:[1,0,0]
	v_pk_fma_f32 v[70:71], s[14:15], v[48:49], v[74:75] op_sel_hi:[0,1,1] neg_lo:[1,0,0] neg_hi:[1,0,0]
	v_add_u32_e32 v74, 0xffffffac, v57
	v_xor_b32_e32 v83, 0x80000000, v51
	v_xor_b32_e32 v82, 0x80000000, v50
	v_ashrrev_i32_e32 v75, 31, v74
	v_pk_fma_f32 v[64:65], v[82:83], s[68:69], v[64:65] op_sel_hi:[1,0,1]
	v_lshl_add_u64 v[82:83], v[74:75], 4, s[6:7]
	global_load_dwordx4 v[74:77], v[82:83], off offset:16
	global_load_dwordx4 v[78:81], v[82:83], off
	v_pk_fma_f32 v[66:67], v[48:49], s[68:69], v[66:67] op_sel_hi:[1,0,1] neg_lo:[1,0,0] neg_hi:[1,0,0]
	s_waitcnt vmcnt(0)
	v_pk_add_f32 v[80:81], v[68:69], v[80:81]
	v_pk_add_f32 v[78:79], v[70:71], v[78:79]
	v_pk_add_f32 v[68:69], v[64:65], v[76:77]
	v_pk_add_f32 v[66:67], v[66:67], v[74:75]
	global_store_dwordx4 v[82:83], v[78:81], off
	global_store_dwordx4 v[82:83], v[66:69], off offset:16
	s_cbranch_scc1 .LBB17_2
; %bb.3:                                ;   in Loop: Header=BB17_1 Depth=1
	s_add_i32 s71, s71, 1
	s_add_i32 s33, s33, 14
	s_cmp_eq_u32 s71, 7
	s_cbranch_scc0 .LBB17_1
; %bb.4:
	s_endpgm
	.section	.rodata,"a",@progbits
	.p2align	6, 0x0
	.amdhsa_kernel _Z27comm_manual_aosoa_constantsPK15HIP_vector_typeIfLj2EEPS0_S2_
		.amdhsa_group_segment_fixed_size 0
		.amdhsa_private_segment_fixed_size 0
		.amdhsa_kernarg_size 280
		.amdhsa_user_sgpr_count 2
		.amdhsa_user_sgpr_dispatch_ptr 0
		.amdhsa_user_sgpr_queue_ptr 0
		.amdhsa_user_sgpr_kernarg_segment_ptr 1
		.amdhsa_user_sgpr_dispatch_id 0
		.amdhsa_user_sgpr_kernarg_preload_length 0
		.amdhsa_user_sgpr_kernarg_preload_offset 0
		.amdhsa_user_sgpr_private_segment_size 0
		.amdhsa_uses_dynamic_stack 0
		.amdhsa_enable_private_segment 0
		.amdhsa_system_sgpr_workgroup_id_x 1
		.amdhsa_system_sgpr_workgroup_id_y 0
		.amdhsa_system_sgpr_workgroup_id_z 0
		.amdhsa_system_sgpr_workgroup_info 0
		.amdhsa_system_vgpr_workitem_id 0
		.amdhsa_next_free_vgpr 86
		.amdhsa_next_free_sgpr 76
		.amdhsa_accum_offset 88
		.amdhsa_reserve_vcc 0
		.amdhsa_float_round_mode_32 0
		.amdhsa_float_round_mode_16_64 0
		.amdhsa_float_denorm_mode_32 3
		.amdhsa_float_denorm_mode_16_64 3
		.amdhsa_dx10_clamp 1
		.amdhsa_ieee_mode 1
		.amdhsa_fp16_overflow 0
		.amdhsa_tg_split 0
		.amdhsa_exception_fp_ieee_invalid_op 0
		.amdhsa_exception_fp_denorm_src 0
		.amdhsa_exception_fp_ieee_div_zero 0
		.amdhsa_exception_fp_ieee_overflow 0
		.amdhsa_exception_fp_ieee_underflow 0
		.amdhsa_exception_fp_ieee_inexact 0
		.amdhsa_exception_int_div_zero 0
	.end_amdhsa_kernel
	.text
.Lfunc_end17:
	.size	_Z27comm_manual_aosoa_constantsPK15HIP_vector_typeIfLj2EEPS0_S2_, .Lfunc_end17-_Z27comm_manual_aosoa_constantsPK15HIP_vector_typeIfLj2EEPS0_S2_
                                        ; -- End function
	.set _Z27comm_manual_aosoa_constantsPK15HIP_vector_typeIfLj2EEPS0_S2_.num_vgpr, 86
	.set _Z27comm_manual_aosoa_constantsPK15HIP_vector_typeIfLj2EEPS0_S2_.num_agpr, 0
	.set _Z27comm_manual_aosoa_constantsPK15HIP_vector_typeIfLj2EEPS0_S2_.numbered_sgpr, 76
	.set _Z27comm_manual_aosoa_constantsPK15HIP_vector_typeIfLj2EEPS0_S2_.num_named_barrier, 0
	.set _Z27comm_manual_aosoa_constantsPK15HIP_vector_typeIfLj2EEPS0_S2_.private_seg_size, 0
	.set _Z27comm_manual_aosoa_constantsPK15HIP_vector_typeIfLj2EEPS0_S2_.uses_vcc, 0
	.set _Z27comm_manual_aosoa_constantsPK15HIP_vector_typeIfLj2EEPS0_S2_.uses_flat_scratch, 0
	.set _Z27comm_manual_aosoa_constantsPK15HIP_vector_typeIfLj2EEPS0_S2_.has_dyn_sized_stack, 0
	.set _Z27comm_manual_aosoa_constantsPK15HIP_vector_typeIfLj2EEPS0_S2_.has_recursion, 0
	.set _Z27comm_manual_aosoa_constantsPK15HIP_vector_typeIfLj2EEPS0_S2_.has_indirect_call, 0
	.section	.AMDGPU.csdata,"",@progbits
; Kernel info:
; codeLenInByte = 2416
; TotalNumSgprs: 82
; NumVgprs: 86
; NumAgprs: 0
; TotalNumVgprs: 86
; ScratchSize: 0
; MemoryBound: 1
; FloatMode: 240
; IeeeMode: 1
; LDSByteSize: 0 bytes/workgroup (compile time only)
; SGPRBlocks: 10
; VGPRBlocks: 10
; NumSGPRsForWavesPerEU: 82
; NumVGPRsForWavesPerEU: 86
; AccumOffset: 88
; Occupancy: 5
; WaveLimiterHint : 1
; COMPUTE_PGM_RSRC2:SCRATCH_EN: 0
; COMPUTE_PGM_RSRC2:USER_SGPR: 2
; COMPUTE_PGM_RSRC2:TRAP_HANDLER: 0
; COMPUTE_PGM_RSRC2:TGID_X_EN: 1
; COMPUTE_PGM_RSRC2:TGID_Y_EN: 0
; COMPUTE_PGM_RSRC2:TGID_Z_EN: 0
; COMPUTE_PGM_RSRC2:TIDIG_COMP_CNT: 0
; COMPUTE_PGM_RSRC3_GFX90A:ACCUM_OFFSET: 21
; COMPUTE_PGM_RSRC3_GFX90A:TG_SPLIT: 0
	.text
	.protected	_Z32comm_manual_aosoa_constants_permPK15HIP_vector_typeIfLj2EEPS0_S2_ ; -- Begin function _Z32comm_manual_aosoa_constants_permPK15HIP_vector_typeIfLj2EEPS0_S2_
	.globl	_Z32comm_manual_aosoa_constants_permPK15HIP_vector_typeIfLj2EEPS0_S2_
	.p2align	8
	.type	_Z32comm_manual_aosoa_constants_permPK15HIP_vector_typeIfLj2EEPS0_S2_,@function
_Z32comm_manual_aosoa_constants_permPK15HIP_vector_typeIfLj2EEPS0_S2_: ; @_Z32comm_manual_aosoa_constants_permPK15HIP_vector_typeIfLj2EEPS0_S2_
; %bb.0:
	s_load_dword s3, s[0:1], 0x24
	s_load_dwordx4 s[4:7], s[0:1], 0x0
	s_load_dwordx2 s[12:13], s[0:1], 0x10
	s_mov_b32 s23, 0
	s_mov_b64 s[16:17], 0xc4
	s_waitcnt lgkmcnt(0)
	s_and_b32 s0, s3, 0xffff
	s_mul_i32 s2, s2, s0
	v_add_u32_e32 v0, s2, v0
	s_movk_i32 s0, 0x62
	v_mul_lo_u32 v72, v0, s0
	s_add_u32 s14, s4, 16
	s_addc_u32 s15, s5, 0
	v_mov_b32_e32 v74, v72
.LBB18_1:                               ; =>This Loop Header: Depth=1
                                        ;     Child Loop BB18_2 Depth 2
	v_mad_u64_u32 v[0:1], s[0:1], s23, 14, v[72:73]
	v_add_u32_e32 v2, 2, v0
	v_ashrrev_i32_e32 v3, 31, v2
	v_lshl_add_u64 v[78:79], v[2:3], 4, s[6:7]
	v_add_u32_e32 v2, 4, v0
	v_ashrrev_i32_e32 v3, 31, v2
	v_lshl_add_u64 v[80:81], v[2:3], 4, s[6:7]
	;; [unrolled: 3-line block ×3, first 2 shown]
	v_add_u32_e32 v2, 8, v0
	v_ashrrev_i32_e32 v1, 31, v0
	v_ashrrev_i32_e32 v3, 31, v2
	v_lshl_add_u64 v[76:77], v[0:1], 4, s[6:7]
	v_lshl_add_u64 v[84:85], v[2:3], 4, s[6:7]
	v_add_u32_e32 v2, 10, v0
	v_add_u32_e32 v0, 12, v0
	v_ashrrev_i32_e32 v3, 31, v2
	v_ashrrev_i32_e32 v1, 31, v0
	v_lshl_add_u64 v[86:87], v[2:3], 4, s[6:7]
	v_lshl_add_u64 v[88:89], v[0:1], 4, s[6:7]
	global_load_dwordx4 v[8:11], v[76:77], off offset:16
	global_load_dwordx4 v[0:3], v[76:77], off
	global_load_dwordx4 v[4:7], v[78:79], off offset:16
	global_load_dwordx4 v[12:15], v[78:79], off
	;; [unrolled: 2-line block ×7, first 2 shown]
	v_ashrrev_i32_e32 v75, 31, v74
	v_lshl_add_u64 v[90:91], v[74:75], 4, s[14:15]
	s_mov_b64 s[18:19], 0
	s_mov_b64 s[20:21], s[16:17]
	v_mov_b32_e32 v92, v72
.LBB18_2:                               ;   Parent Loop BB18_1 Depth=1
                                        ; =>  This Inner Loop Header: Depth=2
	s_add_u32 s0, s12, s20
	s_addc_u32 s1, s13, s21
	s_add_u32 s2, s0, 0xffffff3c
	v_ashrrev_i32_e32 v93, 31, v92
	s_addc_u32 s3, s1, -1
	v_lshl_add_u64 v[68:69], v[92:93], 4, s[4:5]
	s_load_dword s24, s[2:3], 0x0
	s_load_dword s22, s[0:1], 0x0
	global_load_dwordx4 v[56:59], v[90:91], off
	global_load_dwordx4 v[60:63], v[90:91], off offset:-16
	global_load_dwordx4 v[64:67], v[68:69], off offset:16
	s_nop 0
	global_load_dwordx4 v[68:71], v[68:69], off
	s_add_u32 s36, s12, s18
	s_addc_u32 s37, s13, s19
	s_load_dwordx4 s[0:3], s[36:37], 0x0
	s_load_dwordx2 s[30:31], s[36:37], 0x10
	s_load_dword s26, s[36:37], 0x18
	s_load_dword s28, s[36:37], 0xdc
	s_load_dwordx2 s[34:35], s[36:37], 0xd4
	s_load_dwordx4 s[8:11], s[36:37], 0xc4
	s_add_u32 s20, s20, 4
	s_addc_u32 s21, s21, 0
	s_add_u32 s18, s18, 28
	s_addc_u32 s19, s19, 0
	v_lshl_add_u64 v[90:91], v[90:91], 0, 32
	s_cmpk_eq_i32 s18, 0xc4
	s_waitcnt vmcnt(3)
	v_xor_b32_e32 v59, 0x80000000, v59
	s_waitcnt vmcnt(1) lgkmcnt(0)
	v_pk_fma_f32 v[0:1], s[24:25], v[64:65], v[0:1] op_sel_hi:[0,1,1]
	s_waitcnt vmcnt(0)
	v_pk_fma_f32 v[8:9], s[24:25], v[68:69], v[8:9] op_sel_hi:[0,1,1] neg_lo:[1,0,0] neg_hi:[1,0,0]
	v_pk_fma_f32 v[8:9], v[60:61], s[0:1], v[8:9] op_sel_hi:[1,0,1]
	v_pk_fma_f32 v[10:11], s[24:25], v[70:71], v[10:11] op_sel_hi:[0,1,1] neg_lo:[1,0,0] neg_hi:[1,0,0]
	v_pk_fma_f32 v[8:9], s[22:23], v[64:65], v[8:9] op_sel_hi:[0,1,1]
	v_add_u32_e32 v64, 2, v92
	v_pk_fma_f32 v[2:3], s[24:25], v[66:67], v[2:3] op_sel_hi:[0,1,1]
	v_xor_b32_e32 v95, 0x80000000, v63
	v_xor_b32_e32 v94, 0x80000000, v62
	v_pk_fma_f32 v[0:1], v[60:61], s[8:9], v[0:1] op_sel_hi:[1,0,1] neg_lo:[1,0,0] neg_hi:[1,0,0]
	v_ashrrev_i32_e32 v65, 31, v64
	v_pk_fma_f32 v[10:11], v[62:63], s[0:1], v[10:11] op_sel_hi:[1,0,1]
	v_pk_fma_f32 v[2:3], v[94:95], s[8:9], v[2:3] op_sel_hi:[1,0,1]
	;; [unrolled: 1-line block ×3, first 2 shown]
	v_lshl_add_u64 v[68:69], v[64:65], 4, s[4:5]
	v_pk_fma_f32 v[10:11], s[22:23], v[66:67], v[10:11] op_sel_hi:[0,1,1]
	v_pk_fma_f32 v[2:3], s[22:23], v[70:71], v[2:3] op_sel_hi:[0,1,1]
	global_load_dwordx4 v[64:67], v[68:69], off offset:16
	s_nop 0
	global_load_dwordx4 v[68:71], v[68:69], off
	v_xor_b32_e32 v58, 0x80000000, v58
	v_pk_fma_f32 v[2:3], v[58:59], s[0:1], v[2:3] op_sel_hi:[1,0,1]
	v_pk_fma_f32 v[0:1], v[56:57], s[0:1], v[0:1] op_sel_hi:[1,0,1] neg_lo:[1,0,0] neg_hi:[1,0,0]
	v_pk_fma_f32 v[10:11], v[58:59], s[8:9], v[10:11] op_sel_hi:[1,0,1]
	v_pk_fma_f32 v[8:9], v[56:57], s[8:9], v[8:9] op_sel_hi:[1,0,1] neg_lo:[1,0,0] neg_hi:[1,0,0]
	s_waitcnt vmcnt(1)
	v_pk_fma_f32 v[12:13], s[24:25], v[64:65], v[12:13] op_sel_hi:[0,1,1]
	s_waitcnt vmcnt(0)
	v_pk_fma_f32 v[4:5], s[24:25], v[68:69], v[4:5] op_sel_hi:[0,1,1] neg_lo:[1,0,0] neg_hi:[1,0,0]
	v_pk_fma_f32 v[4:5], v[60:61], s[0:1], v[4:5] op_sel:[0,1,0]
	v_pk_fma_f32 v[6:7], s[24:25], v[70:71], v[6:7] op_sel_hi:[0,1,1] neg_lo:[1,0,0] neg_hi:[1,0,0]
	v_pk_fma_f32 v[4:5], s[22:23], v[64:65], v[4:5] op_sel_hi:[0,1,1]
	v_add_u32_e32 v64, 4, v92
	v_pk_fma_f32 v[14:15], s[24:25], v[66:67], v[14:15] op_sel_hi:[0,1,1]
	v_pk_fma_f32 v[12:13], v[60:61], s[8:9], v[12:13] op_sel:[0,1,0] neg_lo:[1,0,0] neg_hi:[1,0,0]
	v_ashrrev_i32_e32 v65, 31, v64
	v_pk_fma_f32 v[6:7], v[62:63], s[0:1], v[6:7] op_sel:[0,1,0]
	v_pk_fma_f32 v[14:15], v[94:95], s[8:9], v[14:15] op_sel:[0,1,0]
	v_pk_fma_f32 v[12:13], s[22:23], v[68:69], v[12:13] op_sel_hi:[0,1,1]
	v_lshl_add_u64 v[68:69], v[64:65], 4, s[4:5]
	v_pk_fma_f32 v[6:7], s[22:23], v[66:67], v[6:7] op_sel_hi:[0,1,1]
	v_pk_fma_f32 v[14:15], s[22:23], v[70:71], v[14:15] op_sel_hi:[0,1,1]
	global_load_dwordx4 v[64:67], v[68:69], off offset:16
	s_nop 0
	global_load_dwordx4 v[68:71], v[68:69], off
	v_pk_fma_f32 v[14:15], v[58:59], s[0:1], v[14:15] op_sel:[0,1,0]
	v_pk_fma_f32 v[12:13], v[56:57], s[0:1], v[12:13] op_sel:[0,1,0] neg_lo:[1,0,0] neg_hi:[1,0,0]
	s_mov_b32 s0, s3
	v_pk_fma_f32 v[6:7], v[58:59], s[8:9], v[6:7] op_sel:[0,1,0]
	v_pk_fma_f32 v[4:5], v[56:57], s[8:9], v[4:5] op_sel:[0,1,0] neg_lo:[1,0,0] neg_hi:[1,0,0]
	s_waitcnt vmcnt(1)
	v_pk_fma_f32 v[20:21], s[24:25], v[64:65], v[20:21] op_sel_hi:[0,1,1]
	s_waitcnt vmcnt(0)
	v_pk_fma_f32 v[16:17], s[24:25], v[68:69], v[16:17] op_sel_hi:[0,1,1] neg_lo:[1,0,0] neg_hi:[1,0,0]
	v_pk_fma_f32 v[16:17], v[60:61], s[2:3], v[16:17] op_sel_hi:[1,0,1]
	v_pk_fma_f32 v[18:19], s[24:25], v[70:71], v[18:19] op_sel_hi:[0,1,1] neg_lo:[1,0,0] neg_hi:[1,0,0]
	v_pk_fma_f32 v[16:17], s[22:23], v[64:65], v[16:17] op_sel_hi:[0,1,1]
	v_add_u32_e32 v64, 6, v92
	v_pk_fma_f32 v[22:23], s[24:25], v[66:67], v[22:23] op_sel_hi:[0,1,1]
	v_pk_fma_f32 v[20:21], v[60:61], s[10:11], v[20:21] op_sel_hi:[1,0,1] neg_lo:[1,0,0] neg_hi:[1,0,0]
	v_ashrrev_i32_e32 v65, 31, v64
	v_pk_fma_f32 v[18:19], v[62:63], s[2:3], v[18:19] op_sel_hi:[1,0,1]
	v_pk_fma_f32 v[22:23], v[94:95], s[10:11], v[22:23] op_sel_hi:[1,0,1]
	v_pk_fma_f32 v[20:21], s[22:23], v[68:69], v[20:21] op_sel_hi:[0,1,1]
	v_lshl_add_u64 v[68:69], v[64:65], 4, s[4:5]
	v_pk_fma_f32 v[18:19], s[22:23], v[66:67], v[18:19] op_sel_hi:[0,1,1]
	v_pk_fma_f32 v[22:23], s[22:23], v[70:71], v[22:23] op_sel_hi:[0,1,1]
	global_load_dwordx4 v[64:67], v[68:69], off offset:16
	s_nop 0
	global_load_dwordx4 v[68:71], v[68:69], off
	v_pk_fma_f32 v[22:23], v[58:59], s[2:3], v[22:23] op_sel_hi:[1,0,1]
	v_pk_fma_f32 v[20:21], v[56:57], s[2:3], v[20:21] op_sel_hi:[1,0,1] neg_lo:[1,0,0] neg_hi:[1,0,0]
	s_mov_b32 s2, s11
	v_pk_fma_f32 v[18:19], v[58:59], s[10:11], v[18:19] op_sel_hi:[1,0,1]
	v_pk_fma_f32 v[16:17], v[56:57], s[10:11], v[16:17] op_sel_hi:[1,0,1] neg_lo:[1,0,0] neg_hi:[1,0,0]
	s_waitcnt vmcnt(1)
	v_pk_fma_f32 v[28:29], s[24:25], v[64:65], v[28:29] op_sel_hi:[0,1,1]
	s_waitcnt vmcnt(0)
	v_pk_fma_f32 v[24:25], s[24:25], v[68:69], v[24:25] op_sel_hi:[0,1,1] neg_lo:[1,0,0] neg_hi:[1,0,0]
	v_pk_fma_f32 v[24:25], v[60:61], s[0:1], v[24:25] op_sel_hi:[1,0,1]
	v_pk_fma_f32 v[26:27], s[24:25], v[70:71], v[26:27] op_sel_hi:[0,1,1] neg_lo:[1,0,0] neg_hi:[1,0,0]
	v_pk_fma_f32 v[24:25], s[22:23], v[64:65], v[24:25] op_sel_hi:[0,1,1]
	v_add_u32_e32 v64, 8, v92
	v_pk_fma_f32 v[30:31], s[24:25], v[66:67], v[30:31] op_sel_hi:[0,1,1]
	v_pk_fma_f32 v[28:29], v[60:61], s[2:3], v[28:29] op_sel_hi:[1,0,1] neg_lo:[1,0,0] neg_hi:[1,0,0]
	v_ashrrev_i32_e32 v65, 31, v64
	v_pk_fma_f32 v[26:27], v[62:63], s[0:1], v[26:27] op_sel_hi:[1,0,1]
	v_pk_fma_f32 v[30:31], v[94:95], s[2:3], v[30:31] op_sel_hi:[1,0,1]
	;; [unrolled: 1-line block ×3, first 2 shown]
	v_lshl_add_u64 v[68:69], v[64:65], 4, s[4:5]
	v_pk_fma_f32 v[26:27], s[22:23], v[66:67], v[26:27] op_sel_hi:[0,1,1]
	v_pk_fma_f32 v[30:31], s[22:23], v[70:71], v[30:31] op_sel_hi:[0,1,1]
	global_load_dwordx4 v[64:67], v[68:69], off offset:16
	s_nop 0
	global_load_dwordx4 v[68:71], v[68:69], off
	v_pk_fma_f32 v[26:27], v[58:59], s[2:3], v[26:27] op_sel_hi:[1,0,1]
	v_pk_fma_f32 v[24:25], v[56:57], s[2:3], v[24:25] op_sel_hi:[1,0,1] neg_lo:[1,0,0] neg_hi:[1,0,0]
	v_pk_fma_f32 v[30:31], v[58:59], s[0:1], v[30:31] op_sel_hi:[1,0,1]
	v_pk_fma_f32 v[28:29], v[56:57], s[0:1], v[28:29] op_sel_hi:[1,0,1] neg_lo:[1,0,0] neg_hi:[1,0,0]
	s_waitcnt vmcnt(1)
	v_pk_fma_f32 v[36:37], s[24:25], v[64:65], v[36:37] op_sel_hi:[0,1,1]
	s_waitcnt vmcnt(0)
	v_pk_fma_f32 v[32:33], s[24:25], v[68:69], v[32:33] op_sel_hi:[0,1,1] neg_lo:[1,0,0] neg_hi:[1,0,0]
	v_pk_fma_f32 v[32:33], v[60:61], s[30:31], v[32:33] op_sel_hi:[1,0,1]
	v_pk_fma_f32 v[34:35], s[24:25], v[70:71], v[34:35] op_sel_hi:[0,1,1] neg_lo:[1,0,0] neg_hi:[1,0,0]
	v_pk_fma_f32 v[32:33], s[22:23], v[64:65], v[32:33] op_sel_hi:[0,1,1]
	v_add_u32_e32 v64, 10, v92
	v_pk_fma_f32 v[38:39], s[24:25], v[66:67], v[38:39] op_sel_hi:[0,1,1]
	v_pk_fma_f32 v[36:37], v[60:61], s[34:35], v[36:37] op_sel_hi:[1,0,1] neg_lo:[1,0,0] neg_hi:[1,0,0]
	v_ashrrev_i32_e32 v65, 31, v64
	v_pk_fma_f32 v[34:35], v[62:63], s[30:31], v[34:35] op_sel_hi:[1,0,1]
	v_pk_fma_f32 v[38:39], v[94:95], s[34:35], v[38:39] op_sel_hi:[1,0,1]
	;; [unrolled: 1-line block ×3, first 2 shown]
	v_lshl_add_u64 v[68:69], v[64:65], 4, s[4:5]
	v_pk_fma_f32 v[34:35], s[22:23], v[66:67], v[34:35] op_sel_hi:[0,1,1]
	v_pk_fma_f32 v[38:39], s[22:23], v[70:71], v[38:39] op_sel_hi:[0,1,1]
	global_load_dwordx4 v[64:67], v[68:69], off offset:16
	s_nop 0
	global_load_dwordx4 v[68:71], v[68:69], off
	v_pk_fma_f32 v[34:35], v[58:59], s[34:35], v[34:35] op_sel_hi:[1,0,1]
	v_pk_fma_f32 v[32:33], v[56:57], s[34:35], v[32:33] op_sel_hi:[1,0,1] neg_lo:[1,0,0] neg_hi:[1,0,0]
	v_pk_fma_f32 v[38:39], v[58:59], s[30:31], v[38:39] op_sel_hi:[1,0,1]
	v_pk_fma_f32 v[36:37], v[56:57], s[30:31], v[36:37] op_sel_hi:[1,0,1] neg_lo:[1,0,0] neg_hi:[1,0,0]
	s_waitcnt vmcnt(1)
	v_pk_fma_f32 v[44:45], s[24:25], v[64:65], v[44:45] op_sel_hi:[0,1,1]
	s_waitcnt vmcnt(0)
	v_pk_fma_f32 v[40:41], s[24:25], v[68:69], v[40:41] op_sel_hi:[0,1,1] neg_lo:[1,0,0] neg_hi:[1,0,0]
	v_pk_fma_f32 v[40:41], v[60:61], s[30:31], v[40:41] op_sel:[0,1,0]
	v_pk_fma_f32 v[42:43], s[24:25], v[70:71], v[42:43] op_sel_hi:[0,1,1] neg_lo:[1,0,0] neg_hi:[1,0,0]
	v_pk_fma_f32 v[40:41], s[22:23], v[64:65], v[40:41] op_sel_hi:[0,1,1]
	v_add_u32_e32 v64, 12, v92
	v_pk_fma_f32 v[46:47], s[24:25], v[66:67], v[46:47] op_sel_hi:[0,1,1]
	v_ashrrev_i32_e32 v65, 31, v64
	v_pk_fma_f32 v[42:43], v[62:63], s[30:31], v[42:43] op_sel:[0,1,0]
	v_pk_fma_f32 v[46:47], v[94:95], s[34:35], v[46:47] op_sel:[0,1,0]
	v_pk_fma_f32 v[44:45], v[60:61], s[34:35], v[44:45] op_sel:[0,1,0] neg_lo:[1,0,0] neg_hi:[1,0,0]
	v_lshl_add_u64 v[64:65], v[64:65], 4, s[4:5]
	v_pk_fma_f32 v[42:43], s[22:23], v[66:67], v[42:43] op_sel_hi:[0,1,1]
	v_pk_fma_f32 v[46:47], s[22:23], v[70:71], v[46:47] op_sel_hi:[0,1,1]
	;; [unrolled: 1-line block ×3, first 2 shown]
	global_load_dwordx4 v[68:71], v[64:65], off offset:16
	s_nop 0
	global_load_dwordx4 v[64:67], v[64:65], off
	v_pk_fma_f32 v[42:43], v[58:59], s[34:35], v[42:43] op_sel:[0,1,0]
	v_pk_fma_f32 v[40:41], v[56:57], s[34:35], v[40:41] op_sel:[0,1,0] neg_lo:[1,0,0] neg_hi:[1,0,0]
	v_pk_fma_f32 v[46:47], v[58:59], s[30:31], v[46:47] op_sel:[0,1,0]
	v_pk_fma_f32 v[44:45], v[56:57], s[30:31], v[44:45] op_sel:[0,1,0] neg_lo:[1,0,0] neg_hi:[1,0,0]
	v_add_u32_e32 v92, 14, v92
	s_waitcnt vmcnt(1)
	v_pk_fma_f32 v[50:51], s[24:25], v[70:71], v[50:51] op_sel_hi:[0,1,1]
	s_waitcnt vmcnt(0)
	v_pk_fma_f32 v[54:55], s[24:25], v[66:67], v[54:55] op_sel_hi:[0,1,1] neg_lo:[1,0,0] neg_hi:[1,0,0]
	v_pk_fma_f32 v[52:53], s[24:25], v[64:65], v[52:53] op_sel_hi:[0,1,1] neg_lo:[1,0,0] neg_hi:[1,0,0]
	v_pk_fma_f32 v[48:49], s[24:25], v[68:69], v[48:49] op_sel_hi:[0,1,1]
	v_pk_fma_f32 v[54:55], v[62:63], s[26:27], v[54:55] op_sel_hi:[1,0,1]
	;; [unrolled: 1-line block ×4, first 2 shown]
	v_pk_fma_f32 v[48:49], v[60:61], s[28:29], v[48:49] op_sel_hi:[1,0,1] neg_lo:[1,0,0] neg_hi:[1,0,0]
	v_pk_fma_f32 v[54:55], s[22:23], v[70:71], v[54:55] op_sel_hi:[0,1,1]
	v_pk_fma_f32 v[52:53], s[22:23], v[68:69], v[52:53] op_sel_hi:[0,1,1]
	;; [unrolled: 1-line block ×5, first 2 shown]
	v_pk_fma_f32 v[52:53], v[56:57], s[28:29], v[52:53] op_sel_hi:[1,0,1] neg_lo:[1,0,0] neg_hi:[1,0,0]
	v_pk_fma_f32 v[50:51], v[58:59], s[26:27], v[50:51] op_sel_hi:[1,0,1]
	v_pk_fma_f32 v[48:49], v[56:57], s[26:27], v[48:49] op_sel_hi:[1,0,1] neg_lo:[1,0,0] neg_hi:[1,0,0]
	s_cbranch_scc0 .LBB18_2
; %bb.3:                                ;   in Loop: Header=BB18_1 Depth=1
	s_add_i32 s23, s23, 1
	s_add_u32 s16, s16, 28
	s_addc_u32 s17, s17, 0
	s_cmp_eq_u32 s23, 7
	v_add_u32_e32 v74, 14, v74
	global_store_dwordx4 v[76:77], v[0:3], off
	global_store_dwordx4 v[76:77], v[8:11], off offset:16
	global_store_dwordx4 v[78:79], v[12:15], off
	global_store_dwordx4 v[78:79], v[4:7], off offset:16
	;; [unrolled: 2-line block ×7, first 2 shown]
	s_cbranch_scc0 .LBB18_1
; %bb.4:
	s_endpgm
	.section	.rodata,"a",@progbits
	.p2align	6, 0x0
	.amdhsa_kernel _Z32comm_manual_aosoa_constants_permPK15HIP_vector_typeIfLj2EEPS0_S2_
		.amdhsa_group_segment_fixed_size 0
		.amdhsa_private_segment_fixed_size 0
		.amdhsa_kernarg_size 280
		.amdhsa_user_sgpr_count 2
		.amdhsa_user_sgpr_dispatch_ptr 0
		.amdhsa_user_sgpr_queue_ptr 0
		.amdhsa_user_sgpr_kernarg_segment_ptr 1
		.amdhsa_user_sgpr_dispatch_id 0
		.amdhsa_user_sgpr_kernarg_preload_length 0
		.amdhsa_user_sgpr_kernarg_preload_offset 0
		.amdhsa_user_sgpr_private_segment_size 0
		.amdhsa_uses_dynamic_stack 0
		.amdhsa_enable_private_segment 0
		.amdhsa_system_sgpr_workgroup_id_x 1
		.amdhsa_system_sgpr_workgroup_id_y 0
		.amdhsa_system_sgpr_workgroup_id_z 0
		.amdhsa_system_sgpr_workgroup_info 0
		.amdhsa_system_vgpr_workitem_id 0
		.amdhsa_next_free_vgpr 96
		.amdhsa_next_free_sgpr 38
		.amdhsa_accum_offset 96
		.amdhsa_reserve_vcc 0
		.amdhsa_float_round_mode_32 0
		.amdhsa_float_round_mode_16_64 0
		.amdhsa_float_denorm_mode_32 3
		.amdhsa_float_denorm_mode_16_64 3
		.amdhsa_dx10_clamp 1
		.amdhsa_ieee_mode 1
		.amdhsa_fp16_overflow 0
		.amdhsa_tg_split 0
		.amdhsa_exception_fp_ieee_invalid_op 0
		.amdhsa_exception_fp_denorm_src 0
		.amdhsa_exception_fp_ieee_div_zero 0
		.amdhsa_exception_fp_ieee_overflow 0
		.amdhsa_exception_fp_ieee_underflow 0
		.amdhsa_exception_fp_ieee_inexact 0
		.amdhsa_exception_int_div_zero 0
	.end_amdhsa_kernel
	.text
.Lfunc_end18:
	.size	_Z32comm_manual_aosoa_constants_permPK15HIP_vector_typeIfLj2EEPS0_S2_, .Lfunc_end18-_Z32comm_manual_aosoa_constants_permPK15HIP_vector_typeIfLj2EEPS0_S2_
                                        ; -- End function
	.set _Z32comm_manual_aosoa_constants_permPK15HIP_vector_typeIfLj2EEPS0_S2_.num_vgpr, 96
	.set _Z32comm_manual_aosoa_constants_permPK15HIP_vector_typeIfLj2EEPS0_S2_.num_agpr, 0
	.set _Z32comm_manual_aosoa_constants_permPK15HIP_vector_typeIfLj2EEPS0_S2_.numbered_sgpr, 38
	.set _Z32comm_manual_aosoa_constants_permPK15HIP_vector_typeIfLj2EEPS0_S2_.num_named_barrier, 0
	.set _Z32comm_manual_aosoa_constants_permPK15HIP_vector_typeIfLj2EEPS0_S2_.private_seg_size, 0
	.set _Z32comm_manual_aosoa_constants_permPK15HIP_vector_typeIfLj2EEPS0_S2_.uses_vcc, 0
	.set _Z32comm_manual_aosoa_constants_permPK15HIP_vector_typeIfLj2EEPS0_S2_.uses_flat_scratch, 0
	.set _Z32comm_manual_aosoa_constants_permPK15HIP_vector_typeIfLj2EEPS0_S2_.has_dyn_sized_stack, 0
	.set _Z32comm_manual_aosoa_constants_permPK15HIP_vector_typeIfLj2EEPS0_S2_.has_recursion, 0
	.set _Z32comm_manual_aosoa_constants_permPK15HIP_vector_typeIfLj2EEPS0_S2_.has_indirect_call, 0
	.section	.AMDGPU.csdata,"",@progbits
; Kernel info:
; codeLenInByte = 1860
; TotalNumSgprs: 44
; NumVgprs: 96
; NumAgprs: 0
; TotalNumVgprs: 96
; ScratchSize: 0
; MemoryBound: 1
; FloatMode: 240
; IeeeMode: 1
; LDSByteSize: 0 bytes/workgroup (compile time only)
; SGPRBlocks: 5
; VGPRBlocks: 11
; NumSGPRsForWavesPerEU: 44
; NumVGPRsForWavesPerEU: 96
; AccumOffset: 96
; Occupancy: 5
; WaveLimiterHint : 1
; COMPUTE_PGM_RSRC2:SCRATCH_EN: 0
; COMPUTE_PGM_RSRC2:USER_SGPR: 2
; COMPUTE_PGM_RSRC2:TRAP_HANDLER: 0
; COMPUTE_PGM_RSRC2:TGID_X_EN: 1
; COMPUTE_PGM_RSRC2:TGID_Y_EN: 0
; COMPUTE_PGM_RSRC2:TGID_Z_EN: 0
; COMPUTE_PGM_RSRC2:TIDIG_COMP_CNT: 0
; COMPUTE_PGM_RSRC3_GFX90A:ACCUM_OFFSET: 23
; COMPUTE_PGM_RSRC3_GFX90A:TG_SPLIT: 0
	.text
	.protected	_Z41comm_manual_aosoa_constants_perm_prefetchPK15HIP_vector_typeIfLj2EEPS0_S2_ ; -- Begin function _Z41comm_manual_aosoa_constants_perm_prefetchPK15HIP_vector_typeIfLj2EEPS0_S2_
	.globl	_Z41comm_manual_aosoa_constants_perm_prefetchPK15HIP_vector_typeIfLj2EEPS0_S2_
	.p2align	8
	.type	_Z41comm_manual_aosoa_constants_perm_prefetchPK15HIP_vector_typeIfLj2EEPS0_S2_,@function
_Z41comm_manual_aosoa_constants_perm_prefetchPK15HIP_vector_typeIfLj2EEPS0_S2_: ; @_Z41comm_manual_aosoa_constants_perm_prefetchPK15HIP_vector_typeIfLj2EEPS0_S2_
; %bb.0:
	s_load_dword s3, s[0:1], 0x24
	s_load_dwordx4 s[4:7], s[0:1], 0x0
	s_load_dwordx2 s[12:13], s[0:1], 0x10
	s_mov_b32 s15, 0
	s_mov_b32 s33, 0
	s_waitcnt lgkmcnt(0)
	s_and_b32 s0, s3, 0xffff
	s_mul_i32 s2, s2, s0
	v_add_u32_e32 v0, s2, v0
	s_movk_i32 s0, 0x62
	v_mul_lo_u32 v56, v0, s0
	v_ashrrev_i32_e32 v57, 31, v56
	v_lshl_add_u64 v[0:1], v[56:57], 4, s[4:5]
	v_add_u32_e32 v72, 0x54, v56
	v_lshl_add_u64 v[58:59], v[0:1], 0, 16
	s_mov_b32 s71, 0
.LBB19_1:                               ; =>This Loop Header: Depth=1
                                        ;     Child Loop BB19_2 Depth 2
	s_mul_i32 s14, s71, 7
	s_lshl_b64 s[0:1], s[14:15], 2
	s_add_u32 s26, s12, s0
	s_addc_u32 s27, s13, s1
	v_mad_u64_u32 v[0:1], s[0:1], s71, 14, v[56:57]
	v_ashrrev_i32_e32 v1, 31, v0
	v_lshl_add_u64 v[8:9], v[0:1], 4, s[4:5]
	s_lshl_b32 s0, s14, 1
	global_load_dwordx4 v[0:3], v[8:9], off offset:16
	global_load_dwordx4 v[4:7], v[8:9], off
	v_add3_u32 v8, s0, 2, v56
	v_ashrrev_i32_e32 v9, 31, v8
	v_lshl_add_u64 v[16:17], v[8:9], 4, s[4:5]
	global_load_dwordx4 v[8:11], v[16:17], off offset:16
	global_load_dwordx4 v[12:15], v[16:17], off
	v_add3_u32 v16, s0, 4, v56
	v_ashrrev_i32_e32 v17, 31, v16
	v_lshl_add_u64 v[24:25], v[16:17], 4, s[4:5]
	;; [unrolled: 5-line block ×6, first 2 shown]
	global_load_dwordx4 v[48:51], v[60:61], off offset:16
	global_load_dwordx4 v[52:55], v[60:61], off
	s_load_dwordx4 s[0:3], s[26:27], 0x0
	s_load_dwordx2 s[16:17], s[26:27], 0x10
	s_load_dword s20, s[26:27], 0x18
	s_load_dwordx4 s[8:11], s[26:27], 0xc4
	s_mov_b64 s[66:67], 0
	v_mov_b64_e32 v[60:61], v[58:59]
	s_waitcnt lgkmcnt(0)
	s_mov_b32 s18, s0
	s_mov_b32 s19, s0
	;; [unrolled: 1-line block ×4, first 2 shown]
	s_load_dword s0, s[26:27], 0xdc
	s_load_dwordx2 s[24:25], s[26:27], 0xd4
	s_mov_b32 s26, s8
	s_mov_b32 s27, s8
	;; [unrolled: 1-line block ×29, first 2 shown]
	s_waitcnt lgkmcnt(0)
	s_mov_b32 s54, s24
	s_mov_b32 s55, s24
	;; [unrolled: 1-line block ×16, first 2 shown]
	v_mov_b32_e32 v62, v72
.LBB19_2:                               ;   Parent Loop BB19_1 Depth=1
                                        ; =>  This Inner Loop Header: Depth=2
	global_load_dwordx4 v[64:67], v[60:61], off
	global_load_dwordx4 v[68:71], v[60:61], off offset:-16
	s_add_u32 s68, s12, s66
	s_addc_u32 s69, s13, s67
	s_load_dword s72, s[68:69], 0x0
	s_load_dword s70, s[68:69], 0x1c
	;; [unrolled: 1-line block ×4, first 2 shown]
	s_waitcnt vmcnt(15)
	v_xor_b32_e32 v79, 0x80000000, v3
	v_xor_b32_e32 v78, 0x80000000, v2
	v_ashrrev_i32_e32 v63, 31, v62
	v_add_u32_e32 v57, s33, v62
	s_add_u32 s66, s66, 4
	s_addc_u32 s67, s67, 0
	v_lshl_add_u64 v[60:61], v[60:61], 0, 32
	s_cmp_lg_u32 s66, 28
	s_waitcnt vmcnt(0)
	v_pk_fma_f32 v[76:77], v[68:69], s[18:19], 0 op_sel_hi:[1,1,0] neg_lo:[1,0,0] neg_hi:[1,0,0]
	v_xor_b32_e32 v75, 0x80000000, v71
	v_xor_b32_e32 v74, 0x80000000, v70
	s_waitcnt lgkmcnt(0)
	v_pk_fma_f32 v[76:77], v[4:5], s[72:73], v[76:77] op_sel_hi:[1,0,1]
	v_pk_fma_f32 v[74:75], v[74:75], s[22:23], 0 op_sel_hi:[1,1,0]
	v_pk_fma_f32 v[76:77], v[64:65], s[26:27], v[76:77]
	v_pk_fma_f32 v[64:65], s[18:19], v[64:65], 0 op_sel_hi:[1,1,0]
	v_pk_fma_f32 v[74:75], v[6:7], s[72:73], v[74:75] op_sel_hi:[1,0,1]
	v_pk_fma_f32 v[64:65], v[4:5], s[74:75], v[64:65] op_sel_hi:[1,0,1] neg_lo:[1,0,0] neg_hi:[1,0,0]
	v_pk_fma_f32 v[74:75], v[66:67], s[28:29], v[74:75]
	v_pk_fma_f32 v[64:65], v[68:69], s[26:27], v[64:65]
	v_pk_fma_f32 v[74:75], v[78:79], s[74:75], v[74:75] op_sel_hi:[1,0,1]
	v_pk_fma_f32 v[66:67], s[22:23], v[66:67], 0 op_sel_hi:[1,1,0]
	v_xor_b32_e32 v79, 0x80000000, v7
	v_xor_b32_e32 v78, 0x80000000, v6
	v_pk_fma_f32 v[80:81], s[72:73], v[0:1], v[64:65] op_sel_hi:[0,1,1] neg_lo:[1,0,0] neg_hi:[1,0,0]
	v_add_u32_e32 v64, 0xffffffba, v62
	v_pk_fma_f32 v[66:67], v[78:79], s[74:75], v[66:67] op_sel_hi:[1,0,1]
	v_ashrrev_i32_e32 v65, 31, v64
	v_pk_fma_f32 v[66:67], v[70:71], s[28:29], v[66:67]
	v_lshl_add_u64 v[68:69], v[64:65], 4, s[4:5]
	v_pk_fma_f32 v[78:79], s[72:73], v[2:3], v[66:67] op_sel_hi:[0,1,1] neg_lo:[1,0,0] neg_hi:[1,0,0]
	global_load_dwordx4 v[64:67], v[68:69], off offset:16
	s_nop 0
	global_load_dwordx4 v[68:71], v[68:69], off
	s_load_dword s72, s[68:69], 0xe0
	v_pk_fma_f32 v[76:77], v[0:1], s[74:75], v[76:77] op_sel_hi:[1,0,1] neg_lo:[1,0,0] neg_hi:[1,0,0]
	s_waitcnt vmcnt(0)
	v_xor_b32_e32 v83, 0x80000000, v71
	v_pk_fma_f32 v[76:77], v[68:69], s[30:31], v[76:77] neg_lo:[1,0,0] neg_hi:[1,0,0]
	v_xor_b32_e32 v82, 0x80000000, v70
	v_pk_fma_f32 v[76:77], v[12:13], s[70:71], v[76:77] op_sel_hi:[1,0,1]
	v_pk_fma_f32 v[74:75], v[82:83], s[34:35], v[74:75]
	v_pk_fma_f32 v[76:77], v[64:65], s[36:37], v[76:77]
	;; [unrolled: 1-line block ×3, first 2 shown]
	v_pk_fma_f32 v[74:75], v[14:15], s[70:71], v[74:75] op_sel_hi:[1,0,1]
	s_waitcnt lgkmcnt(0)
	v_pk_fma_f32 v[64:65], v[12:13], s[72:73], v[64:65] op_sel_hi:[1,0,1] neg_lo:[1,0,0] neg_hi:[1,0,0]
	v_pk_fma_f32 v[74:75], v[66:67], s[8:9], v[74:75]
	v_pk_fma_f32 v[64:65], v[68:69], s[36:37], v[64:65]
	;; [unrolled: 1-line block ×3, first 2 shown]
	v_xor_b32_e32 v79, 0x80000000, v15
	v_xor_b32_e32 v78, 0x80000000, v14
	v_pk_fma_f32 v[80:81], s[70:71], v[8:9], v[64:65] op_sel_hi:[0,1,1] neg_lo:[1,0,0] neg_hi:[1,0,0]
	v_subrev_u32_e32 v64, 56, v62
	v_pk_fma_f32 v[66:67], v[78:79], s[72:73], v[66:67] op_sel_hi:[1,0,1]
	v_ashrrev_i32_e32 v65, 31, v64
	v_pk_fma_f32 v[66:67], v[70:71], s[8:9], v[66:67]
	v_lshl_add_u64 v[68:69], v[64:65], 4, s[4:5]
	v_pk_fma_f32 v[78:79], s[70:71], v[10:11], v[66:67] op_sel_hi:[0,1,1] neg_lo:[1,0,0] neg_hi:[1,0,0]
	global_load_dwordx4 v[64:67], v[68:69], off offset:16
	s_nop 0
	global_load_dwordx4 v[68:71], v[68:69], off
	s_load_dword s70, s[68:69], 0xfc
	v_pk_fma_f32 v[76:77], v[8:9], s[72:73], v[76:77] op_sel_hi:[1,0,1] neg_lo:[1,0,0] neg_hi:[1,0,0]
	v_xor_b32_e32 v83, 0x80000000, v11
	v_xor_b32_e32 v82, 0x80000000, v10
	v_pk_fma_f32 v[74:75], v[82:83], s[72:73], v[74:75] op_sel_hi:[1,0,1]
	s_waitcnt vmcnt(0)
	v_pk_fma_f32 v[76:77], v[68:69], s[38:39], v[76:77] neg_lo:[1,0,0] neg_hi:[1,0,0]
	s_nop 0
	v_pk_fma_f32 v[76:77], v[20:21], s[14:15], v[76:77] op_sel_hi:[1,0,1]
	v_xor_b32_e32 v83, 0x80000000, v71
	v_xor_b32_e32 v82, 0x80000000, v70
	v_pk_fma_f32 v[76:77], v[64:65], s[42:43], v[76:77]
	v_pk_fma_f32 v[64:65], s[38:39], v[64:65], v[80:81]
	;; [unrolled: 1-line block ×3, first 2 shown]
	s_waitcnt lgkmcnt(0)
	v_pk_fma_f32 v[64:65], v[20:21], s[70:71], v[64:65] op_sel_hi:[1,0,1] neg_lo:[1,0,0] neg_hi:[1,0,0]
	v_pk_fma_f32 v[74:75], v[22:23], s[14:15], v[74:75] op_sel_hi:[1,0,1]
	v_pk_fma_f32 v[64:65], v[68:69], s[42:43], v[64:65]
	v_pk_fma_f32 v[74:75], v[66:67], s[44:45], v[74:75]
	;; [unrolled: 1-line block ×3, first 2 shown]
	v_xor_b32_e32 v79, 0x80000000, v23
	v_xor_b32_e32 v78, 0x80000000, v22
	v_pk_fma_f32 v[80:81], s[14:15], v[16:17], v[64:65] op_sel_hi:[0,1,1] neg_lo:[1,0,0] neg_hi:[1,0,0]
	v_subrev_u32_e32 v64, 42, v62
	v_pk_fma_f32 v[66:67], v[78:79], s[70:71], v[66:67] op_sel_hi:[1,0,1]
	v_ashrrev_i32_e32 v65, 31, v64
	v_pk_fma_f32 v[66:67], v[70:71], s[44:45], v[66:67]
	v_lshl_add_u64 v[68:69], v[64:65], 4, s[4:5]
	v_pk_fma_f32 v[78:79], s[14:15], v[18:19], v[66:67] op_sel_hi:[0,1,1] neg_lo:[1,0,0] neg_hi:[1,0,0]
	global_load_dwordx4 v[64:67], v[68:69], off offset:16
	s_nop 0
	global_load_dwordx4 v[68:71], v[68:69], off
	s_load_dword s14, s[68:69], 0x54
	v_xor_b32_e32 v83, 0x80000000, v19
	v_xor_b32_e32 v82, 0x80000000, v18
	v_pk_fma_f32 v[74:75], v[82:83], s[70:71], v[74:75] op_sel_hi:[1,0,1]
	v_pk_fma_f32 v[76:77], v[16:17], s[70:71], v[76:77] op_sel_hi:[1,0,1] neg_lo:[1,0,0] neg_hi:[1,0,0]
	s_load_dword s70, s[68:69], 0x118
	s_waitcnt vmcnt(0)
	v_pk_fma_f32 v[76:77], v[68:69], s[46:47], v[76:77] neg_lo:[1,0,0] neg_hi:[1,0,0]
	s_waitcnt lgkmcnt(0)
	v_pk_fma_f32 v[76:77], v[28:29], s[14:15], v[76:77] op_sel_hi:[1,0,1]
	v_xor_b32_e32 v83, 0x80000000, v71
	v_xor_b32_e32 v82, 0x80000000, v70
	v_pk_fma_f32 v[76:77], v[64:65], s[48:49], v[76:77]
	v_pk_fma_f32 v[64:65], s[46:47], v[64:65], v[80:81]
	;; [unrolled: 1-line block ×3, first 2 shown]
	v_pk_fma_f32 v[64:65], v[28:29], s[70:71], v[64:65] op_sel_hi:[1,0,1] neg_lo:[1,0,0] neg_hi:[1,0,0]
	v_pk_fma_f32 v[74:75], v[30:31], s[14:15], v[74:75] op_sel_hi:[1,0,1]
	v_pk_fma_f32 v[64:65], v[68:69], s[48:49], v[64:65]
	v_pk_fma_f32 v[74:75], v[66:67], s[10:11], v[74:75]
	;; [unrolled: 1-line block ×3, first 2 shown]
	v_xor_b32_e32 v79, 0x80000000, v31
	v_xor_b32_e32 v78, 0x80000000, v30
	v_pk_fma_f32 v[80:81], s[14:15], v[24:25], v[64:65] op_sel_hi:[0,1,1] neg_lo:[1,0,0] neg_hi:[1,0,0]
	v_subrev_u32_e32 v64, 28, v62
	v_pk_fma_f32 v[66:67], v[78:79], s[70:71], v[66:67] op_sel_hi:[1,0,1]
	v_ashrrev_i32_e32 v65, 31, v64
	v_pk_fma_f32 v[66:67], v[70:71], s[10:11], v[66:67]
	v_lshl_add_u64 v[68:69], v[64:65], 4, s[4:5]
	v_pk_fma_f32 v[78:79], s[14:15], v[26:27], v[66:67] op_sel_hi:[0,1,1] neg_lo:[1,0,0] neg_hi:[1,0,0]
	global_load_dwordx4 v[64:67], v[68:69], off offset:16
	s_nop 0
	global_load_dwordx4 v[68:71], v[68:69], off
	s_load_dword s14, s[68:69], 0x70
	v_xor_b32_e32 v83, 0x80000000, v27
	v_xor_b32_e32 v82, 0x80000000, v26
	v_pk_fma_f32 v[74:75], v[82:83], s[70:71], v[74:75] op_sel_hi:[1,0,1]
	v_pk_fma_f32 v[76:77], v[24:25], s[70:71], v[76:77] op_sel_hi:[1,0,1] neg_lo:[1,0,0] neg_hi:[1,0,0]
	s_load_dword s70, s[68:69], 0x134
	s_waitcnt vmcnt(0)
	v_pk_fma_f32 v[76:77], v[68:69], s[50:51], v[76:77] neg_lo:[1,0,0] neg_hi:[1,0,0]
	s_waitcnt lgkmcnt(0)
	v_pk_fma_f32 v[76:77], v[36:37], s[14:15], v[76:77] op_sel_hi:[1,0,1]
	v_xor_b32_e32 v83, 0x80000000, v71
	v_xor_b32_e32 v82, 0x80000000, v70
	v_pk_fma_f32 v[76:77], v[64:65], s[54:55], v[76:77]
	v_pk_fma_f32 v[64:65], s[50:51], v[64:65], v[80:81]
	;; [unrolled: 1-line block ×3, first 2 shown]
	v_pk_fma_f32 v[64:65], v[36:37], s[70:71], v[64:65] op_sel_hi:[1,0,1] neg_lo:[1,0,0] neg_hi:[1,0,0]
	v_pk_fma_f32 v[74:75], v[38:39], s[14:15], v[74:75] op_sel_hi:[1,0,1]
	v_pk_fma_f32 v[64:65], v[68:69], s[54:55], v[64:65]
	v_pk_fma_f32 v[74:75], v[66:67], s[56:57], v[74:75]
	;; [unrolled: 1-line block ×3, first 2 shown]
	v_xor_b32_e32 v79, 0x80000000, v39
	v_xor_b32_e32 v78, 0x80000000, v38
	v_pk_fma_f32 v[80:81], s[14:15], v[32:33], v[64:65] op_sel_hi:[0,1,1] neg_lo:[1,0,0] neg_hi:[1,0,0]
	v_add_u32_e32 v64, -14, v62
	v_pk_fma_f32 v[66:67], v[78:79], s[70:71], v[66:67] op_sel_hi:[1,0,1]
	v_ashrrev_i32_e32 v65, 31, v64
	v_pk_fma_f32 v[66:67], v[70:71], s[56:57], v[66:67]
	v_lshl_add_u64 v[68:69], v[64:65], 4, s[4:5]
	v_pk_fma_f32 v[78:79], s[14:15], v[34:35], v[66:67] op_sel_hi:[0,1,1] neg_lo:[1,0,0] neg_hi:[1,0,0]
	global_load_dwordx4 v[64:67], v[68:69], off offset:16
	s_nop 0
	global_load_dwordx4 v[68:71], v[68:69], off
	s_load_dword s14, s[68:69], 0x8c
	v_xor_b32_e32 v83, 0x80000000, v35
	v_xor_b32_e32 v82, 0x80000000, v34
	v_pk_fma_f32 v[74:75], v[82:83], s[70:71], v[74:75] op_sel_hi:[1,0,1]
	v_pk_fma_f32 v[76:77], v[32:33], s[70:71], v[76:77] op_sel_hi:[1,0,1] neg_lo:[1,0,0] neg_hi:[1,0,0]
	s_load_dword s70, s[68:69], 0x150
	s_waitcnt vmcnt(0)
	v_xor_b32_e32 v83, 0x80000000, v71
	v_xor_b32_e32 v82, 0x80000000, v70
	v_pk_fma_f32 v[76:77], v[68:69], s[16:17], v[76:77] neg_lo:[1,0,0] neg_hi:[1,0,0]
	v_pk_fma_f32 v[74:75], v[82:83], s[58:59], v[74:75]
	s_waitcnt lgkmcnt(0)
	v_pk_fma_f32 v[76:77], v[44:45], s[14:15], v[76:77] op_sel_hi:[1,0,1]
	v_pk_fma_f32 v[74:75], v[46:47], s[14:15], v[74:75] op_sel_hi:[1,0,1]
	v_pk_fma_f32 v[76:77], v[64:65], s[24:25], v[76:77]
	v_pk_fma_f32 v[64:65], s[16:17], v[64:65], v[80:81]
	;; [unrolled: 1-line block ×3, first 2 shown]
	v_xor_b32_e32 v83, 0x80000000, v43
	v_xor_b32_e32 v82, 0x80000000, v42
	v_pk_fma_f32 v[64:65], v[44:45], s[70:71], v[64:65] op_sel_hi:[1,0,1] neg_lo:[1,0,0] neg_hi:[1,0,0]
	v_pk_fma_f32 v[82:83], v[82:83], s[70:71], v[74:75] op_sel_hi:[1,0,1]
	v_pk_fma_f32 v[66:67], s[58:59], v[66:67], v[78:79]
	v_xor_b32_e32 v75, 0x80000000, v47
	v_xor_b32_e32 v74, 0x80000000, v46
	v_pk_fma_f32 v[64:65], v[68:69], s[24:25], v[64:65]
	v_pk_fma_f32 v[66:67], v[74:75], s[70:71], v[66:67] op_sel_hi:[1,0,1]
	v_pk_fma_f32 v[80:81], s[14:15], v[40:41], v[64:65] op_sel_hi:[0,1,1] neg_lo:[1,0,0] neg_hi:[1,0,0]
	v_lshl_add_u64 v[64:65], v[62:63], 4, s[4:5]
	v_pk_fma_f32 v[84:85], v[40:41], s[70:71], v[76:77] op_sel_hi:[1,0,1] neg_lo:[1,0,0] neg_hi:[1,0,0]
	v_pk_fma_f32 v[66:67], v[70:71], s[60:61], v[66:67]
	global_load_dwordx4 v[68:71], v[64:65], off offset:16
	global_load_dwordx4 v[74:77], v[64:65], off
	v_pk_fma_f32 v[78:79], s[14:15], v[42:43], v[66:67] op_sel_hi:[0,1,1] neg_lo:[1,0,0] neg_hi:[1,0,0]
	s_load_dword s14, s[68:69], 0xa8
	v_add_u32_e32 v62, 2, v62
	s_load_dword s68, s[68:69], 0x16c
	s_waitcnt vmcnt(0)
	v_xor_b32_e32 v65, 0x80000000, v77
	v_xor_b32_e32 v64, 0x80000000, v76
	v_pk_fma_f32 v[64:65], v[64:65], s[62:63], v[82:83]
	v_pk_fma_f32 v[66:67], v[74:75], s[20:21], v[84:85] neg_lo:[1,0,0] neg_hi:[1,0,0]
	s_waitcnt lgkmcnt(0)
	v_pk_fma_f32 v[64:65], v[54:55], s[14:15], v[64:65] op_sel_hi:[1,0,1]
	v_pk_fma_f32 v[66:67], v[52:53], s[14:15], v[66:67] op_sel_hi:[1,0,1]
	v_pk_fma_f32 v[64:65], v[70:71], s[64:65], v[64:65]
	v_pk_fma_f32 v[66:67], v[68:69], s[0:1], v[66:67]
	;; [unrolled: 1-line block ×4, first 2 shown]
	v_xor_b32_e32 v79, 0x80000000, v55
	v_xor_b32_e32 v78, 0x80000000, v54
	v_pk_fma_f32 v[70:71], v[78:79], s[68:69], v[70:71] op_sel_hi:[1,0,1]
	v_pk_fma_f32 v[68:69], v[52:53], s[68:69], v[68:69] op_sel_hi:[1,0,1] neg_lo:[1,0,0] neg_hi:[1,0,0]
	v_pk_fma_f32 v[70:71], v[76:77], s[64:65], v[70:71]
	v_pk_fma_f32 v[74:75], v[74:75], s[0:1], v[68:69]
	v_pk_fma_f32 v[68:69], s[14:15], v[50:51], v[70:71] op_sel_hi:[0,1,1] neg_lo:[1,0,0] neg_hi:[1,0,0]
	v_pk_fma_f32 v[70:71], s[14:15], v[48:49], v[74:75] op_sel_hi:[0,1,1] neg_lo:[1,0,0] neg_hi:[1,0,0]
	v_add_u32_e32 v74, 0xffffffac, v57
	v_xor_b32_e32 v83, 0x80000000, v51
	v_xor_b32_e32 v82, 0x80000000, v50
	v_ashrrev_i32_e32 v75, 31, v74
	v_pk_fma_f32 v[64:65], v[82:83], s[68:69], v[64:65] op_sel_hi:[1,0,1]
	v_lshl_add_u64 v[82:83], v[74:75], 4, s[6:7]
	global_load_dwordx4 v[74:77], v[82:83], off offset:16
	global_load_dwordx4 v[78:81], v[82:83], off
	v_pk_fma_f32 v[66:67], v[48:49], s[68:69], v[66:67] op_sel_hi:[1,0,1] neg_lo:[1,0,0] neg_hi:[1,0,0]
	s_waitcnt vmcnt(0)
	v_pk_add_f32 v[80:81], v[68:69], v[80:81]
	v_pk_add_f32 v[78:79], v[70:71], v[78:79]
	;; [unrolled: 1-line block ×4, first 2 shown]
	global_store_dwordx4 v[82:83], v[78:81], off
	global_store_dwordx4 v[82:83], v[66:69], off offset:16
	s_cbranch_scc1 .LBB19_2
; %bb.3:                                ;   in Loop: Header=BB19_1 Depth=1
	s_add_i32 s71, s71, 1
	s_add_i32 s33, s33, 14
	s_cmp_eq_u32 s71, 7
	s_cbranch_scc0 .LBB19_1
; %bb.4:
	s_endpgm
	.section	.rodata,"a",@progbits
	.p2align	6, 0x0
	.amdhsa_kernel _Z41comm_manual_aosoa_constants_perm_prefetchPK15HIP_vector_typeIfLj2EEPS0_S2_
		.amdhsa_group_segment_fixed_size 0
		.amdhsa_private_segment_fixed_size 0
		.amdhsa_kernarg_size 280
		.amdhsa_user_sgpr_count 2
		.amdhsa_user_sgpr_dispatch_ptr 0
		.amdhsa_user_sgpr_queue_ptr 0
		.amdhsa_user_sgpr_kernarg_segment_ptr 1
		.amdhsa_user_sgpr_dispatch_id 0
		.amdhsa_user_sgpr_kernarg_preload_length 0
		.amdhsa_user_sgpr_kernarg_preload_offset 0
		.amdhsa_user_sgpr_private_segment_size 0
		.amdhsa_uses_dynamic_stack 0
		.amdhsa_enable_private_segment 0
		.amdhsa_system_sgpr_workgroup_id_x 1
		.amdhsa_system_sgpr_workgroup_id_y 0
		.amdhsa_system_sgpr_workgroup_id_z 0
		.amdhsa_system_sgpr_workgroup_info 0
		.amdhsa_system_vgpr_workitem_id 0
		.amdhsa_next_free_vgpr 86
		.amdhsa_next_free_sgpr 76
		.amdhsa_accum_offset 88
		.amdhsa_reserve_vcc 0
		.amdhsa_float_round_mode_32 0
		.amdhsa_float_round_mode_16_64 0
		.amdhsa_float_denorm_mode_32 3
		.amdhsa_float_denorm_mode_16_64 3
		.amdhsa_dx10_clamp 1
		.amdhsa_ieee_mode 1
		.amdhsa_fp16_overflow 0
		.amdhsa_tg_split 0
		.amdhsa_exception_fp_ieee_invalid_op 0
		.amdhsa_exception_fp_denorm_src 0
		.amdhsa_exception_fp_ieee_div_zero 0
		.amdhsa_exception_fp_ieee_overflow 0
		.amdhsa_exception_fp_ieee_underflow 0
		.amdhsa_exception_fp_ieee_inexact 0
		.amdhsa_exception_int_div_zero 0
	.end_amdhsa_kernel
	.text
.Lfunc_end19:
	.size	_Z41comm_manual_aosoa_constants_perm_prefetchPK15HIP_vector_typeIfLj2EEPS0_S2_, .Lfunc_end19-_Z41comm_manual_aosoa_constants_perm_prefetchPK15HIP_vector_typeIfLj2EEPS0_S2_
                                        ; -- End function
	.set _Z41comm_manual_aosoa_constants_perm_prefetchPK15HIP_vector_typeIfLj2EEPS0_S2_.num_vgpr, 86
	.set _Z41comm_manual_aosoa_constants_perm_prefetchPK15HIP_vector_typeIfLj2EEPS0_S2_.num_agpr, 0
	.set _Z41comm_manual_aosoa_constants_perm_prefetchPK15HIP_vector_typeIfLj2EEPS0_S2_.numbered_sgpr, 76
	.set _Z41comm_manual_aosoa_constants_perm_prefetchPK15HIP_vector_typeIfLj2EEPS0_S2_.num_named_barrier, 0
	.set _Z41comm_manual_aosoa_constants_perm_prefetchPK15HIP_vector_typeIfLj2EEPS0_S2_.private_seg_size, 0
	.set _Z41comm_manual_aosoa_constants_perm_prefetchPK15HIP_vector_typeIfLj2EEPS0_S2_.uses_vcc, 0
	.set _Z41comm_manual_aosoa_constants_perm_prefetchPK15HIP_vector_typeIfLj2EEPS0_S2_.uses_flat_scratch, 0
	.set _Z41comm_manual_aosoa_constants_perm_prefetchPK15HIP_vector_typeIfLj2EEPS0_S2_.has_dyn_sized_stack, 0
	.set _Z41comm_manual_aosoa_constants_perm_prefetchPK15HIP_vector_typeIfLj2EEPS0_S2_.has_recursion, 0
	.set _Z41comm_manual_aosoa_constants_perm_prefetchPK15HIP_vector_typeIfLj2EEPS0_S2_.has_indirect_call, 0
	.section	.AMDGPU.csdata,"",@progbits
; Kernel info:
; codeLenInByte = 2416
; TotalNumSgprs: 82
; NumVgprs: 86
; NumAgprs: 0
; TotalNumVgprs: 86
; ScratchSize: 0
; MemoryBound: 1
; FloatMode: 240
; IeeeMode: 1
; LDSByteSize: 0 bytes/workgroup (compile time only)
; SGPRBlocks: 10
; VGPRBlocks: 10
; NumSGPRsForWavesPerEU: 82
; NumVGPRsForWavesPerEU: 86
; AccumOffset: 88
; Occupancy: 5
; WaveLimiterHint : 1
; COMPUTE_PGM_RSRC2:SCRATCH_EN: 0
; COMPUTE_PGM_RSRC2:USER_SGPR: 2
; COMPUTE_PGM_RSRC2:TRAP_HANDLER: 0
; COMPUTE_PGM_RSRC2:TGID_X_EN: 1
; COMPUTE_PGM_RSRC2:TGID_Y_EN: 0
; COMPUTE_PGM_RSRC2:TGID_Z_EN: 0
; COMPUTE_PGM_RSRC2:TIDIG_COMP_CNT: 0
; COMPUTE_PGM_RSRC3_GFX90A:ACCUM_OFFSET: 21
; COMPUTE_PGM_RSRC3_GFX90A:TG_SPLIT: 0
	.text
	.protected	_Z24comm_manual_aosoa_directPK15HIP_vector_typeIfLj2EEPS0_S2_i ; -- Begin function _Z24comm_manual_aosoa_directPK15HIP_vector_typeIfLj2EEPS0_S2_i
	.globl	_Z24comm_manual_aosoa_directPK15HIP_vector_typeIfLj2EEPS0_S2_i
	.p2align	8
	.type	_Z24comm_manual_aosoa_directPK15HIP_vector_typeIfLj2EEPS0_S2_i,@function
_Z24comm_manual_aosoa_directPK15HIP_vector_typeIfLj2EEPS0_S2_i: ; @_Z24comm_manual_aosoa_directPK15HIP_vector_typeIfLj2EEPS0_S2_i
; %bb.0:
	s_load_dword s8, s[0:1], 0x18
	s_waitcnt lgkmcnt(0)
	s_cmp_lt_i32 s8, 1
	s_cbranch_scc1 .LBB20_7
; %bb.1:
	s_load_dword s3, s[0:1], 0x2c
	s_load_dwordx4 s[4:7], s[0:1], 0x0
	s_load_dwordx2 s[10:11], s[0:1], 0x10
	s_mul_i32 s23, s8, s8
	s_mov_b32 s1, 0
	s_waitcnt lgkmcnt(0)
	s_and_b32 s0, s3, 0xffff
	s_mul_i32 s2, s2, s0
	v_add_u32_e32 v0, s2, v0
	v_mul_lo_u32 v1, s8, v0
	v_mul_lo_u32 v0, s23, v0
	s_mov_b32 s9, s1
	v_lshlrev_b32_e32 v15, 1, v0
	v_mul_lo_u32 v14, v1, s8
	s_lshl_b64 s[2:3], s[8:9], 2
	s_lshl_b32 s9, s8, 1
	v_mov_b32_e32 v16, v15
	s_mov_b64 s[12:13], s[10:11]
	s_mov_b32 s25, s23
	s_mov_b32 s26, 0
.LBB20_2:                               ; =>This Loop Header: Depth=1
                                        ;     Child Loop BB20_3 Depth 2
                                        ;       Child Loop BB20_4 Depth 3
	s_mul_i32 s0, s26, s8
	v_add_u32_e32 v17, s0, v14
	v_mov_b32_e32 v18, v15
	s_mov_b64 s[14:15], s[10:11]
	s_mov_b32 s27, s23
	s_mov_b32 s28, s1
.LBB20_3:                               ;   Parent Loop BB20_2 Depth=1
                                        ; =>  This Loop Header: Depth=2
                                        ;       Child Loop BB20_4 Depth 3
	v_add_lshl_u32 v0, v17, s28, 1
	v_ashrrev_i32_e32 v1, 31, v0
	v_lshl_add_u64 v[8:9], v[0:1], 4, s[6:7]
	global_load_dwordx4 v[0:3], v[8:9], off offset:16
	global_load_dwordx4 v[4:7], v[8:9], off
	s_mov_b32 s29, 0
	v_mov_b32_e32 v10, v16
	s_mov_b64 s[16:17], s[12:13]
	v_mov_b32_e32 v12, v18
	s_mov_b64 s[18:19], s[14:15]
	s_mov_b32 s20, s27
.LBB20_4:                               ;   Parent Loop BB20_2 Depth=1
                                        ;     Parent Loop BB20_3 Depth=2
                                        ; =>    This Inner Loop Header: Depth=3
	v_ashrrev_i32_e32 v13, 31, v12
	v_ashrrev_i32_e32 v11, 31, v10
	v_lshl_add_u64 v[36:37], v[12:13], 4, s[4:5]
	v_lshl_add_u64 v[38:39], v[10:11], 4, s[4:5]
	global_load_dwordx4 v[20:23], v[36:37], off
	global_load_dwordx4 v[24:27], v[38:39], off offset:16
	global_load_dwordx4 v[28:31], v[36:37], off offset:16
	global_load_dwordx4 v[32:35], v[38:39], off
	s_add_i32 s0, s25, s29
	s_lshl_b64 s[30:31], s[0:1], 2
	s_add_u32 s30, s10, s30
	s_addc_u32 s31, s11, s31
	s_ashr_i32 s21, s20, 31
	s_load_dword s24, s[16:17], 0x0
	s_load_dword s22, s[18:19], 0x0
	;; [unrolled: 1-line block ×3, first 2 shown]
	s_lshl_b64 s[30:31], s[20:21], 2
	s_add_u32 s30, s10, s30
	s_addc_u32 s31, s11, s31
	s_load_dword s30, s[30:31], 0x0
	s_add_i32 s29, s29, 1
	s_add_i32 s20, s20, s8
	s_add_u32 s18, s18, s2
	s_addc_u32 s19, s19, s3
	s_add_u32 s16, s16, 4
	s_addc_u32 s17, s17, 0
	v_add_u32_e32 v12, s9, v12
	v_add_u32_e32 v10, 2, v10
	s_cmp_eq_u32 s8, s29
	s_waitcnt vmcnt(3)
	v_xor_b32_e32 v37, 0x80000000, v23
	v_xor_b32_e32 v36, 0x80000000, v22
	s_waitcnt lgkmcnt(0)
	v_pk_fma_f32 v[0:1], v[20:21], s[24:25], v[0:1] op_sel_hi:[1,0,1] neg_lo:[1,0,0] neg_hi:[1,0,0]
	s_waitcnt vmcnt(1)
	v_pk_fma_f32 v[4:5], s[24:25], v[28:29], v[4:5] op_sel_hi:[0,1,1]
	v_pk_fma_f32 v[6:7], s[24:25], v[30:31], v[6:7] op_sel_hi:[0,1,1]
	s_waitcnt vmcnt(0)
	v_xor_b32_e32 v41, 0x80000000, v35
	v_xor_b32_e32 v40, 0x80000000, v34
	v_pk_fma_f32 v[2:3], v[36:37], s[24:25], v[2:3] op_sel_hi:[1,0,1]
	v_pk_fma_f32 v[0:1], v[32:33], s[22:23], v[0:1] op_sel_hi:[1,0,1]
	;; [unrolled: 1-line block ×3, first 2 shown]
	v_pk_fma_f32 v[4:5], v[32:33], s[30:31], v[4:5] op_sel_hi:[1,0,1] neg_lo:[1,0,0] neg_hi:[1,0,0]
	v_pk_fma_f32 v[2:3], v[34:35], s[22:23], v[2:3] op_sel_hi:[1,0,1]
	v_xor_b32_e32 v39, 0x80000000, v27
	v_xor_b32_e32 v38, 0x80000000, v26
	v_pk_fma_f32 v[0:1], v[28:29], s[0:1], v[0:1] op_sel_hi:[1,0,1]
	v_pk_fma_f32 v[6:7], v[22:23], s[0:1], v[6:7] op_sel_hi:[1,0,1]
	;; [unrolled: 1-line block ×4, first 2 shown]
	v_pk_fma_f32 v[0:1], v[24:25], s[30:31], v[0:1] op_sel_hi:[1,0,1] neg_lo:[1,0,0] neg_hi:[1,0,0]
	v_pk_fma_f32 v[6:7], s[22:23], v[26:27], v[6:7] op_sel_hi:[0,1,1] neg_lo:[1,0,0] neg_hi:[1,0,0]
	;; [unrolled: 1-line block ×3, first 2 shown]
	v_pk_fma_f32 v[2:3], v[38:39], s[30:31], v[2:3] op_sel_hi:[1,0,1]
	s_cbranch_scc0 .LBB20_4
; %bb.5:                                ;   in Loop: Header=BB20_3 Depth=2
	s_add_i32 s28, s28, 1
	s_add_i32 s27, s27, 1
	s_add_u32 s14, s14, 4
	s_addc_u32 s15, s15, 0
	s_cmp_eq_u32 s28, s8
	v_add_u32_e32 v18, 2, v18
	global_store_dwordx4 v[8:9], v[0:3], off offset:16
	global_store_dwordx4 v[8:9], v[4:7], off
	s_cbranch_scc0 .LBB20_3
; %bb.6:                                ;   in Loop: Header=BB20_2 Depth=1
	s_add_i32 s26, s26, 1
	s_add_i32 s25, s25, s8
	s_add_u32 s12, s12, s2
	s_addc_u32 s13, s13, s3
	s_cmp_eq_u32 s26, s8
	v_add_u32_e32 v16, s9, v16
	s_cbranch_scc0 .LBB20_2
.LBB20_7:
	s_endpgm
	.section	.rodata,"a",@progbits
	.p2align	6, 0x0
	.amdhsa_kernel _Z24comm_manual_aosoa_directPK15HIP_vector_typeIfLj2EEPS0_S2_i
		.amdhsa_group_segment_fixed_size 0
		.amdhsa_private_segment_fixed_size 0
		.amdhsa_kernarg_size 288
		.amdhsa_user_sgpr_count 2
		.amdhsa_user_sgpr_dispatch_ptr 0
		.amdhsa_user_sgpr_queue_ptr 0
		.amdhsa_user_sgpr_kernarg_segment_ptr 1
		.amdhsa_user_sgpr_dispatch_id 0
		.amdhsa_user_sgpr_kernarg_preload_length 0
		.amdhsa_user_sgpr_kernarg_preload_offset 0
		.amdhsa_user_sgpr_private_segment_size 0
		.amdhsa_uses_dynamic_stack 0
		.amdhsa_enable_private_segment 0
		.amdhsa_system_sgpr_workgroup_id_x 1
		.amdhsa_system_sgpr_workgroup_id_y 0
		.amdhsa_system_sgpr_workgroup_id_z 0
		.amdhsa_system_sgpr_workgroup_info 0
		.amdhsa_system_vgpr_workitem_id 0
		.amdhsa_next_free_vgpr 42
		.amdhsa_next_free_sgpr 32
		.amdhsa_accum_offset 44
		.amdhsa_reserve_vcc 0
		.amdhsa_float_round_mode_32 0
		.amdhsa_float_round_mode_16_64 0
		.amdhsa_float_denorm_mode_32 3
		.amdhsa_float_denorm_mode_16_64 3
		.amdhsa_dx10_clamp 1
		.amdhsa_ieee_mode 1
		.amdhsa_fp16_overflow 0
		.amdhsa_tg_split 0
		.amdhsa_exception_fp_ieee_invalid_op 0
		.amdhsa_exception_fp_denorm_src 0
		.amdhsa_exception_fp_ieee_div_zero 0
		.amdhsa_exception_fp_ieee_overflow 0
		.amdhsa_exception_fp_ieee_underflow 0
		.amdhsa_exception_fp_ieee_inexact 0
		.amdhsa_exception_int_div_zero 0
	.end_amdhsa_kernel
	.text
.Lfunc_end20:
	.size	_Z24comm_manual_aosoa_directPK15HIP_vector_typeIfLj2EEPS0_S2_i, .Lfunc_end20-_Z24comm_manual_aosoa_directPK15HIP_vector_typeIfLj2EEPS0_S2_i
                                        ; -- End function
	.set _Z24comm_manual_aosoa_directPK15HIP_vector_typeIfLj2EEPS0_S2_i.num_vgpr, 42
	.set _Z24comm_manual_aosoa_directPK15HIP_vector_typeIfLj2EEPS0_S2_i.num_agpr, 0
	.set _Z24comm_manual_aosoa_directPK15HIP_vector_typeIfLj2EEPS0_S2_i.numbered_sgpr, 32
	.set _Z24comm_manual_aosoa_directPK15HIP_vector_typeIfLj2EEPS0_S2_i.num_named_barrier, 0
	.set _Z24comm_manual_aosoa_directPK15HIP_vector_typeIfLj2EEPS0_S2_i.private_seg_size, 0
	.set _Z24comm_manual_aosoa_directPK15HIP_vector_typeIfLj2EEPS0_S2_i.uses_vcc, 0
	.set _Z24comm_manual_aosoa_directPK15HIP_vector_typeIfLj2EEPS0_S2_i.uses_flat_scratch, 0
	.set _Z24comm_manual_aosoa_directPK15HIP_vector_typeIfLj2EEPS0_S2_i.has_dyn_sized_stack, 0
	.set _Z24comm_manual_aosoa_directPK15HIP_vector_typeIfLj2EEPS0_S2_i.has_recursion, 0
	.set _Z24comm_manual_aosoa_directPK15HIP_vector_typeIfLj2EEPS0_S2_i.has_indirect_call, 0
	.section	.AMDGPU.csdata,"",@progbits
; Kernel info:
; codeLenInByte = 640
; TotalNumSgprs: 38
; NumVgprs: 42
; NumAgprs: 0
; TotalNumVgprs: 42
; ScratchSize: 0
; MemoryBound: 1
; FloatMode: 240
; IeeeMode: 1
; LDSByteSize: 0 bytes/workgroup (compile time only)
; SGPRBlocks: 4
; VGPRBlocks: 5
; NumSGPRsForWavesPerEU: 38
; NumVGPRsForWavesPerEU: 42
; AccumOffset: 44
; Occupancy: 8
; WaveLimiterHint : 0
; COMPUTE_PGM_RSRC2:SCRATCH_EN: 0
; COMPUTE_PGM_RSRC2:USER_SGPR: 2
; COMPUTE_PGM_RSRC2:TRAP_HANDLER: 0
; COMPUTE_PGM_RSRC2:TGID_X_EN: 1
; COMPUTE_PGM_RSRC2:TGID_Y_EN: 0
; COMPUTE_PGM_RSRC2:TGID_Z_EN: 0
; COMPUTE_PGM_RSRC2:TIDIG_COMP_CNT: 0
; COMPUTE_PGM_RSRC3_GFX90A:ACCUM_OFFSET: 10
; COMPUTE_PGM_RSRC3_GFX90A:TG_SPLIT: 0
	.text
	.protected	_Z34comm_manual_aosoa_constants_directPK15HIP_vector_typeIfLj2EEPS0_S2_ ; -- Begin function _Z34comm_manual_aosoa_constants_directPK15HIP_vector_typeIfLj2EEPS0_S2_
	.globl	_Z34comm_manual_aosoa_constants_directPK15HIP_vector_typeIfLj2EEPS0_S2_
	.p2align	8
	.type	_Z34comm_manual_aosoa_constants_directPK15HIP_vector_typeIfLj2EEPS0_S2_,@function
_Z34comm_manual_aosoa_constants_directPK15HIP_vector_typeIfLj2EEPS0_S2_: ; @_Z34comm_manual_aosoa_constants_directPK15HIP_vector_typeIfLj2EEPS0_S2_
; %bb.0:
	s_load_dword s3, s[0:1], 0x24
	s_load_dwordx4 s[4:7], s[0:1], 0x0
	s_load_dwordx2 s[12:13], s[0:1], 0x10
	s_mov_b32 s15, 0
	s_mov_b32 s33, 0
	s_waitcnt lgkmcnt(0)
	s_and_b32 s0, s3, 0xffff
	s_mul_i32 s2, s2, s0
	v_add_u32_e32 v0, s2, v0
	s_movk_i32 s0, 0x62
	v_mul_lo_u32 v80, v0, s0
	v_ashrrev_i32_e32 v81, 31, v80
	s_add_u32 s6, s6, 16
	v_lshl_add_u64 v[0:1], v[80:81], 4, s[4:5]
	s_addc_u32 s7, s7, 0
	v_lshl_add_u64 v[82:83], v[0:1], 0, 16
	v_add_u32_e32 v81, 0x54, v80
	v_mov_b32_e32 v84, v80
.LBB21_1:                               ; =>This Loop Header: Depth=1
                                        ;     Child Loop BB21_2 Depth 2
	s_mul_i32 s14, s33, 7
	s_lshl_b64 s[0:1], s[14:15], 2
	s_add_u32 s26, s12, s0
	s_addc_u32 s27, s13, s1
	v_mad_u64_u32 v[0:1], s[0:1], s33, 14, v[80:81]
	v_ashrrev_i32_e32 v1, 31, v0
	v_lshl_add_u64 v[8:9], v[0:1], 4, s[4:5]
	s_lshl_b32 s0, s14, 1
	global_load_dwordx4 v[0:3], v[8:9], off offset:16
	global_load_dwordx4 v[4:7], v[8:9], off
	v_add3_u32 v8, s0, 2, v80
	v_ashrrev_i32_e32 v9, 31, v8
	v_lshl_add_u64 v[16:17], v[8:9], 4, s[4:5]
	global_load_dwordx4 v[8:11], v[16:17], off offset:16
	global_load_dwordx4 v[12:15], v[16:17], off
	v_add3_u32 v16, s0, 4, v80
	v_ashrrev_i32_e32 v17, 31, v16
	v_lshl_add_u64 v[24:25], v[16:17], 4, s[4:5]
	;; [unrolled: 5-line block ×6, first 2 shown]
	global_load_dwordx4 v[48:51], v[56:57], off offset:16
	global_load_dwordx4 v[52:55], v[56:57], off
	s_load_dwordx4 s[0:3], s[26:27], 0x0
	s_load_dwordx2 s[16:17], s[26:27], 0x10
	s_load_dword s20, s[26:27], 0x18
	s_load_dwordx4 s[8:11], s[26:27], 0xc4
	v_ashrrev_i32_e32 v85, 31, v84
	s_mov_b64 s[66:67], 0
	s_waitcnt lgkmcnt(0)
	s_mov_b32 s18, s0
	s_mov_b32 s19, s0
	;; [unrolled: 1-line block ×4, first 2 shown]
	s_load_dword s0, s[26:27], 0xdc
	s_load_dwordx2 s[24:25], s[26:27], 0xd4
	s_mov_b32 s26, s8
	s_mov_b32 s27, s8
	;; [unrolled: 1-line block ×29, first 2 shown]
	s_waitcnt lgkmcnt(0)
	s_mov_b32 s54, s24
	s_mov_b32 s55, s24
	;; [unrolled: 1-line block ×16, first 2 shown]
	v_lshl_add_u64 v[86:87], v[84:85], 4, s[6:7]
	v_mov_b32_e32 v88, v81
	v_mov_b64_e32 v[90:91], v[82:83]
.LBB21_2:                               ;   Parent Loop BB21_1 Depth=1
                                        ; =>  This Inner Loop Header: Depth=2
	global_load_dwordx4 v[56:59], v[90:91], off offset:-16
	global_load_dwordx4 v[64:67], v[86:87], off
	global_load_dwordx4 v[68:71], v[86:87], off offset:-16
	global_load_dwordx4 v[60:63], v[90:91], off
	v_add_u32_e32 v72, 0xffffffba, v88
	v_ashrrev_i32_e32 v73, 31, v72
	v_lshl_add_u64 v[72:73], v[72:73], 4, s[4:5]
	global_load_dwordx4 v[76:79], v[72:73], off
	s_nop 0
	global_load_dwordx4 v[72:75], v[72:73], off offset:16
	s_add_u32 s68, s12, s66
	s_addc_u32 s69, s13, s67
	s_load_dword s70, s[68:69], 0xc4
	s_load_dword s14, s[68:69], 0xa8
	v_subrev_u32_e32 v94, 56, v88
	s_waitcnt vmcnt(18)
	v_xor_b32_e32 v93, 0x80000000, v7
	v_xor_b32_e32 v92, 0x80000000, v6
	v_ashrrev_i32_e32 v95, 31, v94
	v_lshl_add_u64 v[94:95], v[94:95], 4, s[4:5]
	v_ashrrev_i32_e32 v89, 31, v88
	s_add_u32 s66, s66, 4
	s_addc_u32 s67, s67, 0
	v_lshl_add_u64 v[90:91], v[90:91], 0, 32
	s_cmp_lg_u32 s66, 28
	s_waitcnt vmcnt(5)
	v_xor_b32_e32 v97, 0x80000000, v59
	s_waitcnt vmcnt(4)
	v_pk_fma_f32 v[98:99], v[56:57], s[18:19], v[64:65] neg_lo:[1,0,0] neg_hi:[1,0,0]
	v_xor_b32_e32 v96, 0x80000000, v58
	s_waitcnt vmcnt(2)
	v_pk_fma_f32 v[64:65], s[22:23], v[62:63], v[70:71]
	v_pk_fma_f32 v[68:69], s[18:19], v[60:61], v[68:69]
	s_waitcnt lgkmcnt(0)
	v_pk_fma_f32 v[70:71], v[92:93], s[70:71], v[64:65] op_sel_hi:[1,0,1]
	v_pk_fma_f32 v[68:69], v[4:5], s[70:71], v[68:69] op_sel_hi:[1,0,1] neg_lo:[1,0,0] neg_hi:[1,0,0]
	v_pk_fma_f32 v[96:97], v[96:97], s[22:23], v[66:67]
	global_load_dwordx4 v[64:67], v[94:95], off
	v_pk_fma_f32 v[70:71], v[58:59], s[28:29], v[70:71]
	v_pk_fma_f32 v[68:69], v[56:57], s[26:27], v[68:69]
	global_load_dwordx4 v[56:59], v[94:95], off offset:16
	s_load_dword s74, s[68:69], 0x0
	s_load_dword s84, s[68:69], 0x1c
	;; [unrolled: 1-line block ×6, first 2 shown]
	s_waitcnt lgkmcnt(0)
	v_pk_fma_f32 v[94:95], v[4:5], s[74:75], v[98:99] op_sel_hi:[1,0,1]
	v_pk_fma_f32 v[96:97], v[6:7], s[74:75], v[96:97] op_sel_hi:[1,0,1]
	v_pk_fma_f32 v[60:61], v[60:61], s[26:27], v[94:95]
	v_pk_fma_f32 v[94:95], v[62:63], s[28:29], v[96:97]
	v_subrev_u32_e32 v62, 42, v88
	v_ashrrev_i32_e32 v63, 31, v62
	v_lshl_add_u64 v[96:97], v[62:63], 4, s[4:5]
	v_pk_fma_f32 v[62:63], s[74:75], v[2:3], v[70:71] op_sel_hi:[0,1,1] neg_lo:[1,0,0] neg_hi:[1,0,0]
	v_pk_fma_f32 v[68:69], s[74:75], v[0:1], v[68:69] op_sel_hi:[0,1,1] neg_lo:[1,0,0] neg_hi:[1,0,0]
	;; [unrolled: 1-line block ×3, first 2 shown]
	v_xor_b32_e32 v93, 0x80000000, v15
	v_xor_b32_e32 v92, 0x80000000, v14
	s_waitcnt vmcnt(2)
	v_pk_fma_f32 v[62:63], s[34:35], v[74:75], v[62:63]
	v_pk_fma_f32 v[98:99], v[76:77], s[30:31], v[60:61] neg_lo:[1,0,0] neg_hi:[1,0,0]
	v_pk_fma_f32 v[60:61], s[30:31], v[72:73], v[68:69]
	s_load_dword s88, s[68:69], 0xe0
	s_load_dword s90, s[68:69], 0xfc
	;; [unrolled: 1-line block ×5, first 2 shown]
	s_nop 0
	s_load_dword s68, s[68:69], 0x16c
	s_waitcnt lgkmcnt(0)
	v_pk_fma_f32 v[62:63], v[92:93], s[88:89], v[62:63] op_sel_hi:[1,0,1]
	v_pk_fma_f32 v[60:61], v[12:13], s[88:89], v[60:61] op_sel_hi:[1,0,1] neg_lo:[1,0,0] neg_hi:[1,0,0]
	v_xor_b32_e32 v71, 0x80000000, v79
	v_xor_b32_e32 v70, 0x80000000, v78
	v_pk_fma_f32 v[78:79], v[78:79], s[8:9], v[62:63]
	v_pk_fma_f32 v[76:77], v[76:77], s[36:37], v[60:61]
	global_load_dwordx4 v[60:63], v[96:97], off
	v_xor_b32_e32 v69, 0x80000000, v3
	v_xor_b32_e32 v68, 0x80000000, v2
	v_pk_fma_f32 v[68:69], v[68:69], s[70:71], v[94:95] op_sel_hi:[1,0,1]
	v_subrev_u32_e32 v94, 28, v88
	v_pk_fma_f32 v[68:69], v[70:71], s[34:35], v[68:69]
	v_pk_fma_f32 v[70:71], v[12:13], s[84:85], v[98:99] op_sel_hi:[1,0,1]
	v_pk_fma_f32 v[68:69], v[14:15], s[84:85], v[68:69] op_sel_hi:[1,0,1]
	v_pk_fma_f32 v[72:73], v[72:73], s[36:37], v[70:71]
	v_pk_fma_f32 v[74:75], v[74:75], s[8:9], v[68:69]
	global_load_dwordx4 v[68:71], v[96:97], off offset:16
	v_pk_fma_f32 v[78:79], s[84:85], v[10:11], v[78:79] op_sel_hi:[0,1,1] neg_lo:[1,0,0] neg_hi:[1,0,0]
	v_pk_fma_f32 v[72:73], v[8:9], s[88:89], v[72:73] op_sel_hi:[1,0,1] neg_lo:[1,0,0] neg_hi:[1,0,0]
	;; [unrolled: 1-line block ×3, first 2 shown]
	v_xor_b32_e32 v93, 0x80000000, v23
	v_xor_b32_e32 v92, 0x80000000, v22
	v_ashrrev_i32_e32 v95, 31, v94
	v_lshl_add_u64 v[94:95], v[94:95], 4, s[4:5]
	s_waitcnt vmcnt(3)
	v_pk_fma_f32 v[98:99], v[64:65], s[38:39], v[72:73] neg_lo:[1,0,0] neg_hi:[1,0,0]
	v_xor_b32_e32 v97, 0x80000000, v67
	v_xor_b32_e32 v96, 0x80000000, v66
	s_waitcnt vmcnt(2)
	v_pk_fma_f32 v[78:79], s[40:41], v[58:59], v[78:79]
	v_pk_fma_f32 v[72:73], s[38:39], v[56:57], v[76:77]
	v_pk_fma_f32 v[76:77], v[92:93], s[90:91], v[78:79] op_sel_hi:[1,0,1]
	v_pk_fma_f32 v[72:73], v[20:21], s[90:91], v[72:73] op_sel_hi:[1,0,1] neg_lo:[1,0,0] neg_hi:[1,0,0]
	v_pk_fma_f32 v[76:77], v[66:67], s[44:45], v[76:77]
	v_pk_fma_f32 v[78:79], v[64:65], s[42:43], v[72:73]
	global_load_dwordx4 v[64:67], v[94:95], off
	v_xor_b32_e32 v73, 0x80000000, v11
	v_xor_b32_e32 v72, 0x80000000, v10
	v_pk_fma_f32 v[92:93], v[72:73], s[88:89], v[74:75] op_sel_hi:[1,0,1]
	global_load_dwordx4 v[72:75], v[94:95], off offset:16
	v_pk_fma_f32 v[94:95], v[20:21], s[86:87], v[98:99] op_sel_hi:[1,0,1]
	v_pk_fma_f32 v[92:93], v[96:97], s[40:41], v[92:93]
	v_pk_fma_f32 v[56:57], v[56:57], s[42:43], v[94:95]
	v_pk_fma_f32 v[92:93], v[22:23], s[86:87], v[92:93] op_sel_hi:[1,0,1]
	v_pk_fma_f32 v[56:57], v[16:17], s[90:91], v[56:57] op_sel_hi:[1,0,1] neg_lo:[1,0,0] neg_hi:[1,0,0]
	v_pk_fma_f32 v[58:59], v[58:59], s[44:45], v[92:93]
	v_xor_b32_e32 v93, 0x80000000, v19
	v_xor_b32_e32 v92, 0x80000000, v18
	v_pk_fma_f32 v[58:59], v[92:93], s[90:91], v[58:59] op_sel_hi:[1,0,1]
	v_pk_fma_f32 v[76:77], s[86:87], v[18:19], v[76:77] op_sel_hi:[0,1,1] neg_lo:[1,0,0] neg_hi:[1,0,0]
	v_pk_fma_f32 v[78:79], s[86:87], v[16:17], v[78:79] op_sel_hi:[0,1,1] neg_lo:[1,0,0] neg_hi:[1,0,0]
	s_waitcnt vmcnt(3)
	v_pk_fma_f32 v[56:57], v[60:61], s[46:47], v[56:57] neg_lo:[1,0,0] neg_hi:[1,0,0]
	s_nop 0
	v_pk_fma_f32 v[94:95], v[28:29], s[80:81], v[56:57] op_sel_hi:[1,0,1]
	v_add_u32_e32 v56, -14, v88
	v_xor_b32_e32 v93, 0x80000000, v63
	v_xor_b32_e32 v92, 0x80000000, v62
	v_ashrrev_i32_e32 v57, 31, v56
	v_pk_fma_f32 v[58:59], v[92:93], s[2:3], v[58:59]
	v_lshl_add_u64 v[96:97], v[56:57], 4, s[4:5]
	v_pk_fma_f32 v[92:93], v[30:31], s[80:81], v[58:59] op_sel_hi:[1,0,1]
	global_load_dwordx4 v[56:59], v[96:97], off
	s_waitcnt vmcnt(3)
	v_pk_fma_f32 v[92:93], v[70:71], s[10:11], v[92:93]
	v_pk_fma_f32 v[94:95], v[68:69], s[48:49], v[94:95]
	;; [unrolled: 1-line block ×4, first 2 shown]
	v_xor_b32_e32 v77, 0x80000000, v31
	v_xor_b32_e32 v76, 0x80000000, v30
	v_pk_fma_f32 v[76:77], v[76:77], s[82:83], v[70:71] op_sel_hi:[1,0,1]
	v_pk_fma_f32 v[78:79], v[28:29], s[82:83], v[68:69] op_sel_hi:[1,0,1] neg_lo:[1,0,0] neg_hi:[1,0,0]
	global_load_dwordx4 v[68:71], v[96:97], off offset:16
	v_pk_fma_f32 v[62:63], v[62:63], s[10:11], v[76:77]
	v_pk_fma_f32 v[76:77], v[60:61], s[48:49], v[78:79]
	v_xor_b32_e32 v61, 0x80000000, v27
	v_xor_b32_e32 v60, 0x80000000, v26
	v_pk_fma_f32 v[60:61], v[60:61], s[82:83], v[92:93] op_sel_hi:[1,0,1]
	v_pk_fma_f32 v[92:93], v[24:25], s[82:83], v[94:95] op_sel_hi:[1,0,1] neg_lo:[1,0,0] neg_hi:[1,0,0]
	v_lshl_add_u64 v[96:97], v[88:89], 4, s[4:5]
	v_pk_fma_f32 v[94:95], s[80:81], v[26:27], v[62:63] op_sel_hi:[0,1,1] neg_lo:[1,0,0] neg_hi:[1,0,0]
	v_pk_fma_f32 v[76:77], s[80:81], v[24:25], v[76:77] op_sel_hi:[0,1,1] neg_lo:[1,0,0] neg_hi:[1,0,0]
	v_add_u32_e32 v88, 2, v88
	s_waitcnt vmcnt(3)
	v_xor_b32_e32 v79, 0x80000000, v67
	v_xor_b32_e32 v78, 0x80000000, v66
	v_pk_fma_f32 v[78:79], v[78:79], s[52:53], v[60:61]
	global_load_dwordx4 v[60:63], v[96:97], off
	v_pk_fma_f32 v[92:93], v[64:65], s[50:51], v[92:93] neg_lo:[1,0,0] neg_hi:[1,0,0]
	v_pk_fma_f32 v[78:79], v[38:39], s[76:77], v[78:79] op_sel_hi:[1,0,1]
	v_pk_fma_f32 v[92:93], v[36:37], s[76:77], v[92:93] op_sel_hi:[1,0,1]
	s_waitcnt vmcnt(3)
	v_pk_fma_f32 v[78:79], v[74:75], s[56:57], v[78:79]
	v_pk_fma_f32 v[92:93], v[72:73], s[54:55], v[92:93]
	;; [unrolled: 1-line block ×4, first 2 shown]
	global_load_dwordx4 v[72:75], v[96:97], off offset:16
	v_pk_fma_f32 v[76:77], v[36:37], s[78:79], v[76:77] op_sel_hi:[1,0,1] neg_lo:[1,0,0] neg_hi:[1,0,0]
	v_xor_b32_e32 v97, 0x80000000, v39
	v_pk_fma_f32 v[64:65], v[64:65], s[54:55], v[76:77]
	v_xor_b32_e32 v77, 0x80000000, v35
	v_xor_b32_e32 v76, 0x80000000, v34
	;; [unrolled: 1-line block ×3, first 2 shown]
	v_pk_fma_f32 v[76:77], v[76:77], s[78:79], v[78:79] op_sel_hi:[1,0,1]
	v_pk_fma_f32 v[94:95], v[96:97], s[78:79], v[94:95] op_sel_hi:[1,0,1]
	v_pk_fma_f32 v[64:65], s[76:77], v[32:33], v[64:65] op_sel_hi:[0,1,1] neg_lo:[1,0,0] neg_hi:[1,0,0]
	v_pk_fma_f32 v[66:67], v[66:67], s[56:57], v[94:95]
	s_waitcnt vmcnt(3)
	v_xor_b32_e32 v79, 0x80000000, v59
	v_xor_b32_e32 v78, 0x80000000, v58
	v_pk_fma_f32 v[76:77], v[78:79], s[58:59], v[76:77]
	v_pk_fma_f32 v[78:79], v[32:33], s[78:79], v[92:93] op_sel_hi:[1,0,1] neg_lo:[1,0,0] neg_hi:[1,0,0]
	v_pk_fma_f32 v[66:67], s[76:77], v[34:35], v[66:67] op_sel_hi:[0,1,1] neg_lo:[1,0,0] neg_hi:[1,0,0]
	v_pk_fma_f32 v[78:79], v[56:57], s[16:17], v[78:79] neg_lo:[1,0,0] neg_hi:[1,0,0]
	v_pk_fma_f32 v[76:77], v[46:47], s[72:73], v[76:77] op_sel_hi:[1,0,1]
	v_pk_fma_f32 v[78:79], v[44:45], s[72:73], v[78:79] op_sel_hi:[1,0,1]
	s_waitcnt vmcnt(2)
	v_pk_fma_f32 v[64:65], s[16:17], v[68:69], v[64:65]
	v_pk_fma_f32 v[78:79], v[68:69], s[24:25], v[78:79]
	;; [unrolled: 1-line block ×3, first 2 shown]
	v_xor_b32_e32 v69, 0x80000000, v47
	v_xor_b32_e32 v68, 0x80000000, v46
	v_pk_fma_f32 v[64:65], v[44:45], s[74:75], v[64:65] op_sel_hi:[1,0,1] neg_lo:[1,0,0] neg_hi:[1,0,0]
	v_pk_fma_f32 v[76:77], v[70:71], s[60:61], v[76:77]
	v_pk_fma_f32 v[66:67], v[68:69], s[74:75], v[66:67] op_sel_hi:[1,0,1]
	v_pk_fma_f32 v[56:57], v[56:57], s[24:25], v[64:65]
	v_xor_b32_e32 v65, 0x80000000, v43
	v_xor_b32_e32 v64, 0x80000000, v42
	v_pk_fma_f32 v[58:59], v[58:59], s[60:61], v[66:67]
	v_pk_fma_f32 v[64:65], v[64:65], s[74:75], v[76:77] op_sel_hi:[1,0,1]
	v_pk_fma_f32 v[56:57], s[72:73], v[40:41], v[56:57] op_sel_hi:[0,1,1] neg_lo:[1,0,0] neg_hi:[1,0,0]
	v_pk_fma_f32 v[58:59], s[72:73], v[42:43], v[58:59] op_sel_hi:[0,1,1] neg_lo:[1,0,0] neg_hi:[1,0,0]
	v_xor_b32_e32 v69, 0x80000000, v55
	v_xor_b32_e32 v68, 0x80000000, v54
	s_waitcnt vmcnt(1)
	v_xor_b32_e32 v67, 0x80000000, v63
	v_xor_b32_e32 v66, 0x80000000, v62
	v_pk_fma_f32 v[64:65], v[66:67], s[62:63], v[64:65]
	v_pk_fma_f32 v[66:67], v[40:41], s[74:75], v[78:79] op_sel_hi:[1,0,1] neg_lo:[1,0,0] neg_hi:[1,0,0]
	v_pk_fma_f32 v[64:65], v[54:55], s[14:15], v[64:65] op_sel_hi:[1,0,1]
	v_pk_fma_f32 v[66:67], v[60:61], s[20:21], v[66:67] neg_lo:[1,0,0] neg_hi:[1,0,0]
	s_waitcnt vmcnt(0)
	v_pk_fma_f32 v[56:57], s[20:21], v[72:73], v[56:57]
	v_pk_fma_f32 v[66:67], v[52:53], s[14:15], v[66:67] op_sel_hi:[1,0,1]
	v_pk_fma_f32 v[58:59], s[62:63], v[74:75], v[58:59]
	v_pk_fma_f32 v[56:57], v[52:53], s[68:69], v[56:57] op_sel_hi:[1,0,1] neg_lo:[1,0,0] neg_hi:[1,0,0]
	v_pk_fma_f32 v[64:65], v[74:75], s[64:65], v[64:65]
	v_pk_fma_f32 v[66:67], v[72:73], s[0:1], v[66:67]
	v_pk_fma_f32 v[58:59], v[68:69], s[68:69], v[58:59] op_sel_hi:[1,0,1]
	v_pk_fma_f32 v[60:61], v[60:61], s[0:1], v[56:57]
	v_xor_b32_e32 v57, 0x80000000, v51
	v_xor_b32_e32 v56, 0x80000000, v50
	v_pk_fma_f32 v[62:63], v[62:63], s[64:65], v[58:59]
	v_pk_fma_f32 v[58:59], v[56:57], s[68:69], v[64:65] op_sel_hi:[1,0,1]
	v_pk_fma_f32 v[56:57], v[48:49], s[68:69], v[66:67] op_sel_hi:[1,0,1] neg_lo:[1,0,0] neg_hi:[1,0,0]
	global_store_dwordx4 v[86:87], v[56:59], off
	s_nop 1
	v_pk_fma_f32 v[58:59], s[14:15], v[50:51], v[62:63] op_sel_hi:[0,1,1] neg_lo:[1,0,0] neg_hi:[1,0,0]
	v_pk_fma_f32 v[56:57], s[14:15], v[48:49], v[60:61] op_sel_hi:[0,1,1] neg_lo:[1,0,0] neg_hi:[1,0,0]
	global_store_dwordx4 v[86:87], v[56:59], off offset:-16
	v_lshl_add_u64 v[86:87], v[86:87], 0, 32
	s_cbranch_scc1 .LBB21_2
; %bb.3:                                ;   in Loop: Header=BB21_1 Depth=1
	s_add_i32 s33, s33, 1
	s_cmp_eq_u32 s33, 7
	v_add_u32_e32 v84, 14, v84
	s_cbranch_scc0 .LBB21_1
; %bb.4:
	s_endpgm
	.section	.rodata,"a",@progbits
	.p2align	6, 0x0
	.amdhsa_kernel _Z34comm_manual_aosoa_constants_directPK15HIP_vector_typeIfLj2EEPS0_S2_
		.amdhsa_group_segment_fixed_size 0
		.amdhsa_private_segment_fixed_size 0
		.amdhsa_kernarg_size 280
		.amdhsa_user_sgpr_count 2
		.amdhsa_user_sgpr_dispatch_ptr 0
		.amdhsa_user_sgpr_queue_ptr 0
		.amdhsa_user_sgpr_kernarg_segment_ptr 1
		.amdhsa_user_sgpr_dispatch_id 0
		.amdhsa_user_sgpr_kernarg_preload_length 0
		.amdhsa_user_sgpr_kernarg_preload_offset 0
		.amdhsa_user_sgpr_private_segment_size 0
		.amdhsa_uses_dynamic_stack 0
		.amdhsa_enable_private_segment 0
		.amdhsa_system_sgpr_workgroup_id_x 1
		.amdhsa_system_sgpr_workgroup_id_y 0
		.amdhsa_system_sgpr_workgroup_id_z 0
		.amdhsa_system_sgpr_workgroup_info 0
		.amdhsa_system_vgpr_workitem_id 0
		.amdhsa_next_free_vgpr 100
		.amdhsa_next_free_sgpr 92
		.amdhsa_accum_offset 100
		.amdhsa_reserve_vcc 0
		.amdhsa_float_round_mode_32 0
		.amdhsa_float_round_mode_16_64 0
		.amdhsa_float_denorm_mode_32 3
		.amdhsa_float_denorm_mode_16_64 3
		.amdhsa_dx10_clamp 1
		.amdhsa_ieee_mode 1
		.amdhsa_fp16_overflow 0
		.amdhsa_tg_split 0
		.amdhsa_exception_fp_ieee_invalid_op 0
		.amdhsa_exception_fp_denorm_src 0
		.amdhsa_exception_fp_ieee_div_zero 0
		.amdhsa_exception_fp_ieee_overflow 0
		.amdhsa_exception_fp_ieee_underflow 0
		.amdhsa_exception_fp_ieee_inexact 0
		.amdhsa_exception_int_div_zero 0
	.end_amdhsa_kernel
	.text
.Lfunc_end21:
	.size	_Z34comm_manual_aosoa_constants_directPK15HIP_vector_typeIfLj2EEPS0_S2_, .Lfunc_end21-_Z34comm_manual_aosoa_constants_directPK15HIP_vector_typeIfLj2EEPS0_S2_
                                        ; -- End function
	.set _Z34comm_manual_aosoa_constants_directPK15HIP_vector_typeIfLj2EEPS0_S2_.num_vgpr, 100
	.set _Z34comm_manual_aosoa_constants_directPK15HIP_vector_typeIfLj2EEPS0_S2_.num_agpr, 0
	.set _Z34comm_manual_aosoa_constants_directPK15HIP_vector_typeIfLj2EEPS0_S2_.numbered_sgpr, 92
	.set _Z34comm_manual_aosoa_constants_directPK15HIP_vector_typeIfLj2EEPS0_S2_.num_named_barrier, 0
	.set _Z34comm_manual_aosoa_constants_directPK15HIP_vector_typeIfLj2EEPS0_S2_.private_seg_size, 0
	.set _Z34comm_manual_aosoa_constants_directPK15HIP_vector_typeIfLj2EEPS0_S2_.uses_vcc, 0
	.set _Z34comm_manual_aosoa_constants_directPK15HIP_vector_typeIfLj2EEPS0_S2_.uses_flat_scratch, 0
	.set _Z34comm_manual_aosoa_constants_directPK15HIP_vector_typeIfLj2EEPS0_S2_.has_dyn_sized_stack, 0
	.set _Z34comm_manual_aosoa_constants_directPK15HIP_vector_typeIfLj2EEPS0_S2_.has_recursion, 0
	.set _Z34comm_manual_aosoa_constants_directPK15HIP_vector_typeIfLj2EEPS0_S2_.has_indirect_call, 0
	.section	.AMDGPU.csdata,"",@progbits
; Kernel info:
; codeLenInByte = 2388
; TotalNumSgprs: 98
; NumVgprs: 100
; NumAgprs: 0
; TotalNumVgprs: 100
; ScratchSize: 0
; MemoryBound: 1
; FloatMode: 240
; IeeeMode: 1
; LDSByteSize: 0 bytes/workgroup (compile time only)
; SGPRBlocks: 12
; VGPRBlocks: 12
; NumSGPRsForWavesPerEU: 98
; NumVGPRsForWavesPerEU: 100
; AccumOffset: 100
; Occupancy: 4
; WaveLimiterHint : 1
; COMPUTE_PGM_RSRC2:SCRATCH_EN: 0
; COMPUTE_PGM_RSRC2:USER_SGPR: 2
; COMPUTE_PGM_RSRC2:TRAP_HANDLER: 0
; COMPUTE_PGM_RSRC2:TGID_X_EN: 1
; COMPUTE_PGM_RSRC2:TGID_Y_EN: 0
; COMPUTE_PGM_RSRC2:TGID_Z_EN: 0
; COMPUTE_PGM_RSRC2:TIDIG_COMP_CNT: 0
; COMPUTE_PGM_RSRC3_GFX90A:ACCUM_OFFSET: 24
; COMPUTE_PGM_RSRC3_GFX90A:TG_SPLIT: 0
	.text
	.protected	_Z43comm_manual_aosoa_constants_direct_prefetchPK15HIP_vector_typeIfLj2EEPS0_S2_ ; -- Begin function _Z43comm_manual_aosoa_constants_direct_prefetchPK15HIP_vector_typeIfLj2EEPS0_S2_
	.globl	_Z43comm_manual_aosoa_constants_direct_prefetchPK15HIP_vector_typeIfLj2EEPS0_S2_
	.p2align	8
	.type	_Z43comm_manual_aosoa_constants_direct_prefetchPK15HIP_vector_typeIfLj2EEPS0_S2_,@function
_Z43comm_manual_aosoa_constants_direct_prefetchPK15HIP_vector_typeIfLj2EEPS0_S2_: ; @_Z43comm_manual_aosoa_constants_direct_prefetchPK15HIP_vector_typeIfLj2EEPS0_S2_
; %bb.0:
	s_load_dword s3, s[0:1], 0x24
	s_load_dwordx4 s[4:7], s[0:1], 0x0
	s_load_dwordx2 s[12:13], s[0:1], 0x10
	s_mov_b32 s15, 0
	s_mov_b32 s33, 0
	s_waitcnt lgkmcnt(0)
	s_and_b32 s0, s3, 0xffff
	s_mul_i32 s2, s2, s0
	v_add_u32_e32 v0, s2, v0
	s_movk_i32 s0, 0x62
	v_mul_lo_u32 v80, v0, s0
	v_ashrrev_i32_e32 v81, 31, v80
	s_add_u32 s6, s6, 16
	v_lshl_add_u64 v[0:1], v[80:81], 4, s[4:5]
	s_addc_u32 s7, s7, 0
	v_lshl_add_u64 v[82:83], v[0:1], 0, 16
	v_add_u32_e32 v81, 0x54, v80
	v_mov_b32_e32 v84, v80
.LBB22_1:                               ; =>This Loop Header: Depth=1
                                        ;     Child Loop BB22_2 Depth 2
	s_mul_i32 s14, s33, 7
	s_lshl_b64 s[0:1], s[14:15], 2
	s_add_u32 s26, s12, s0
	s_addc_u32 s27, s13, s1
	v_mad_u64_u32 v[0:1], s[0:1], s33, 14, v[80:81]
	v_ashrrev_i32_e32 v1, 31, v0
	v_lshl_add_u64 v[8:9], v[0:1], 4, s[4:5]
	s_lshl_b32 s0, s14, 1
	global_load_dwordx4 v[0:3], v[8:9], off offset:16
	global_load_dwordx4 v[4:7], v[8:9], off
	v_add3_u32 v8, s0, 2, v80
	v_ashrrev_i32_e32 v9, 31, v8
	v_lshl_add_u64 v[16:17], v[8:9], 4, s[4:5]
	global_load_dwordx4 v[8:11], v[16:17], off offset:16
	global_load_dwordx4 v[12:15], v[16:17], off
	v_add3_u32 v16, s0, 4, v80
	v_ashrrev_i32_e32 v17, 31, v16
	v_lshl_add_u64 v[24:25], v[16:17], 4, s[4:5]
	;; [unrolled: 5-line block ×6, first 2 shown]
	global_load_dwordx4 v[48:51], v[56:57], off offset:16
	global_load_dwordx4 v[52:55], v[56:57], off
	s_load_dwordx4 s[0:3], s[26:27], 0x0
	s_load_dwordx2 s[16:17], s[26:27], 0x10
	s_load_dword s20, s[26:27], 0x18
	s_load_dwordx4 s[8:11], s[26:27], 0xc4
	v_ashrrev_i32_e32 v85, 31, v84
	s_mov_b64 s[66:67], 0
	s_waitcnt lgkmcnt(0)
	s_mov_b32 s18, s0
	s_mov_b32 s19, s0
	;; [unrolled: 1-line block ×4, first 2 shown]
	s_load_dword s0, s[26:27], 0xdc
	s_load_dwordx2 s[24:25], s[26:27], 0xd4
	s_mov_b32 s26, s8
	s_mov_b32 s27, s8
	;; [unrolled: 1-line block ×29, first 2 shown]
	s_waitcnt lgkmcnt(0)
	s_mov_b32 s54, s24
	s_mov_b32 s55, s24
	;; [unrolled: 1-line block ×16, first 2 shown]
	v_lshl_add_u64 v[86:87], v[84:85], 4, s[6:7]
	v_mov_b32_e32 v88, v81
	v_mov_b64_e32 v[90:91], v[82:83]
.LBB22_2:                               ;   Parent Loop BB22_1 Depth=1
                                        ; =>  This Inner Loop Header: Depth=2
	global_load_dwordx4 v[56:59], v[90:91], off offset:-16
	global_load_dwordx4 v[64:67], v[86:87], off
	global_load_dwordx4 v[68:71], v[86:87], off offset:-16
	global_load_dwordx4 v[60:63], v[90:91], off
	v_add_u32_e32 v72, 0xffffffba, v88
	v_ashrrev_i32_e32 v73, 31, v72
	v_lshl_add_u64 v[72:73], v[72:73], 4, s[4:5]
	global_load_dwordx4 v[76:79], v[72:73], off
	s_nop 0
	global_load_dwordx4 v[72:75], v[72:73], off offset:16
	s_add_u32 s68, s12, s66
	s_addc_u32 s69, s13, s67
	s_load_dword s70, s[68:69], 0xc4
	s_load_dword s14, s[68:69], 0xa8
	v_subrev_u32_e32 v94, 56, v88
	s_waitcnt vmcnt(18)
	v_xor_b32_e32 v93, 0x80000000, v7
	v_xor_b32_e32 v92, 0x80000000, v6
	v_ashrrev_i32_e32 v95, 31, v94
	v_lshl_add_u64 v[94:95], v[94:95], 4, s[4:5]
	v_ashrrev_i32_e32 v89, 31, v88
	s_add_u32 s66, s66, 4
	s_addc_u32 s67, s67, 0
	v_lshl_add_u64 v[90:91], v[90:91], 0, 32
	s_cmp_lg_u32 s66, 28
	s_waitcnt vmcnt(5)
	v_xor_b32_e32 v97, 0x80000000, v59
	s_waitcnt vmcnt(4)
	v_pk_fma_f32 v[98:99], v[56:57], s[18:19], v[64:65] neg_lo:[1,0,0] neg_hi:[1,0,0]
	v_xor_b32_e32 v96, 0x80000000, v58
	s_waitcnt vmcnt(2)
	v_pk_fma_f32 v[64:65], s[22:23], v[62:63], v[70:71]
	v_pk_fma_f32 v[68:69], s[18:19], v[60:61], v[68:69]
	s_waitcnt lgkmcnt(0)
	v_pk_fma_f32 v[70:71], v[92:93], s[70:71], v[64:65] op_sel_hi:[1,0,1]
	v_pk_fma_f32 v[68:69], v[4:5], s[70:71], v[68:69] op_sel_hi:[1,0,1] neg_lo:[1,0,0] neg_hi:[1,0,0]
	v_pk_fma_f32 v[96:97], v[96:97], s[22:23], v[66:67]
	global_load_dwordx4 v[64:67], v[94:95], off
	v_pk_fma_f32 v[70:71], v[58:59], s[28:29], v[70:71]
	v_pk_fma_f32 v[68:69], v[56:57], s[26:27], v[68:69]
	global_load_dwordx4 v[56:59], v[94:95], off offset:16
	s_load_dword s74, s[68:69], 0x0
	s_load_dword s84, s[68:69], 0x1c
	;; [unrolled: 1-line block ×6, first 2 shown]
	s_waitcnt lgkmcnt(0)
	v_pk_fma_f32 v[94:95], v[4:5], s[74:75], v[98:99] op_sel_hi:[1,0,1]
	v_pk_fma_f32 v[96:97], v[6:7], s[74:75], v[96:97] op_sel_hi:[1,0,1]
	v_pk_fma_f32 v[60:61], v[60:61], s[26:27], v[94:95]
	v_pk_fma_f32 v[94:95], v[62:63], s[28:29], v[96:97]
	v_subrev_u32_e32 v62, 42, v88
	v_ashrrev_i32_e32 v63, 31, v62
	v_lshl_add_u64 v[96:97], v[62:63], 4, s[4:5]
	v_pk_fma_f32 v[62:63], s[74:75], v[2:3], v[70:71] op_sel_hi:[0,1,1] neg_lo:[1,0,0] neg_hi:[1,0,0]
	v_pk_fma_f32 v[68:69], s[74:75], v[0:1], v[68:69] op_sel_hi:[0,1,1] neg_lo:[1,0,0] neg_hi:[1,0,0]
	;; [unrolled: 1-line block ×3, first 2 shown]
	v_xor_b32_e32 v93, 0x80000000, v15
	v_xor_b32_e32 v92, 0x80000000, v14
	s_waitcnt vmcnt(2)
	v_pk_fma_f32 v[62:63], s[34:35], v[74:75], v[62:63]
	v_pk_fma_f32 v[98:99], v[76:77], s[30:31], v[60:61] neg_lo:[1,0,0] neg_hi:[1,0,0]
	v_pk_fma_f32 v[60:61], s[30:31], v[72:73], v[68:69]
	s_load_dword s88, s[68:69], 0xe0
	s_load_dword s90, s[68:69], 0xfc
	;; [unrolled: 1-line block ×5, first 2 shown]
	s_nop 0
	s_load_dword s68, s[68:69], 0x16c
	s_waitcnt lgkmcnt(0)
	v_pk_fma_f32 v[62:63], v[92:93], s[88:89], v[62:63] op_sel_hi:[1,0,1]
	v_pk_fma_f32 v[60:61], v[12:13], s[88:89], v[60:61] op_sel_hi:[1,0,1] neg_lo:[1,0,0] neg_hi:[1,0,0]
	v_xor_b32_e32 v71, 0x80000000, v79
	v_xor_b32_e32 v70, 0x80000000, v78
	v_pk_fma_f32 v[78:79], v[78:79], s[8:9], v[62:63]
	v_pk_fma_f32 v[76:77], v[76:77], s[36:37], v[60:61]
	global_load_dwordx4 v[60:63], v[96:97], off
	v_xor_b32_e32 v69, 0x80000000, v3
	v_xor_b32_e32 v68, 0x80000000, v2
	v_pk_fma_f32 v[68:69], v[68:69], s[70:71], v[94:95] op_sel_hi:[1,0,1]
	v_subrev_u32_e32 v94, 28, v88
	v_pk_fma_f32 v[68:69], v[70:71], s[34:35], v[68:69]
	v_pk_fma_f32 v[70:71], v[12:13], s[84:85], v[98:99] op_sel_hi:[1,0,1]
	v_pk_fma_f32 v[68:69], v[14:15], s[84:85], v[68:69] op_sel_hi:[1,0,1]
	v_pk_fma_f32 v[72:73], v[72:73], s[36:37], v[70:71]
	v_pk_fma_f32 v[74:75], v[74:75], s[8:9], v[68:69]
	global_load_dwordx4 v[68:71], v[96:97], off offset:16
	v_pk_fma_f32 v[78:79], s[84:85], v[10:11], v[78:79] op_sel_hi:[0,1,1] neg_lo:[1,0,0] neg_hi:[1,0,0]
	v_pk_fma_f32 v[72:73], v[8:9], s[88:89], v[72:73] op_sel_hi:[1,0,1] neg_lo:[1,0,0] neg_hi:[1,0,0]
	;; [unrolled: 1-line block ×3, first 2 shown]
	v_xor_b32_e32 v93, 0x80000000, v23
	v_xor_b32_e32 v92, 0x80000000, v22
	v_ashrrev_i32_e32 v95, 31, v94
	v_lshl_add_u64 v[94:95], v[94:95], 4, s[4:5]
	s_waitcnt vmcnt(3)
	v_pk_fma_f32 v[98:99], v[64:65], s[38:39], v[72:73] neg_lo:[1,0,0] neg_hi:[1,0,0]
	v_xor_b32_e32 v97, 0x80000000, v67
	v_xor_b32_e32 v96, 0x80000000, v66
	s_waitcnt vmcnt(2)
	v_pk_fma_f32 v[78:79], s[40:41], v[58:59], v[78:79]
	v_pk_fma_f32 v[72:73], s[38:39], v[56:57], v[76:77]
	v_pk_fma_f32 v[76:77], v[92:93], s[90:91], v[78:79] op_sel_hi:[1,0,1]
	v_pk_fma_f32 v[72:73], v[20:21], s[90:91], v[72:73] op_sel_hi:[1,0,1] neg_lo:[1,0,0] neg_hi:[1,0,0]
	v_pk_fma_f32 v[76:77], v[66:67], s[44:45], v[76:77]
	v_pk_fma_f32 v[78:79], v[64:65], s[42:43], v[72:73]
	global_load_dwordx4 v[64:67], v[94:95], off
	v_xor_b32_e32 v73, 0x80000000, v11
	v_xor_b32_e32 v72, 0x80000000, v10
	v_pk_fma_f32 v[92:93], v[72:73], s[88:89], v[74:75] op_sel_hi:[1,0,1]
	global_load_dwordx4 v[72:75], v[94:95], off offset:16
	v_pk_fma_f32 v[94:95], v[20:21], s[86:87], v[98:99] op_sel_hi:[1,0,1]
	v_pk_fma_f32 v[92:93], v[96:97], s[40:41], v[92:93]
	v_pk_fma_f32 v[56:57], v[56:57], s[42:43], v[94:95]
	v_pk_fma_f32 v[92:93], v[22:23], s[86:87], v[92:93] op_sel_hi:[1,0,1]
	v_pk_fma_f32 v[56:57], v[16:17], s[90:91], v[56:57] op_sel_hi:[1,0,1] neg_lo:[1,0,0] neg_hi:[1,0,0]
	v_pk_fma_f32 v[58:59], v[58:59], s[44:45], v[92:93]
	v_xor_b32_e32 v93, 0x80000000, v19
	v_xor_b32_e32 v92, 0x80000000, v18
	v_pk_fma_f32 v[58:59], v[92:93], s[90:91], v[58:59] op_sel_hi:[1,0,1]
	v_pk_fma_f32 v[76:77], s[86:87], v[18:19], v[76:77] op_sel_hi:[0,1,1] neg_lo:[1,0,0] neg_hi:[1,0,0]
	v_pk_fma_f32 v[78:79], s[86:87], v[16:17], v[78:79] op_sel_hi:[0,1,1] neg_lo:[1,0,0] neg_hi:[1,0,0]
	s_waitcnt vmcnt(3)
	v_pk_fma_f32 v[56:57], v[60:61], s[46:47], v[56:57] neg_lo:[1,0,0] neg_hi:[1,0,0]
	s_nop 0
	v_pk_fma_f32 v[94:95], v[28:29], s[80:81], v[56:57] op_sel_hi:[1,0,1]
	v_add_u32_e32 v56, -14, v88
	v_xor_b32_e32 v93, 0x80000000, v63
	v_xor_b32_e32 v92, 0x80000000, v62
	v_ashrrev_i32_e32 v57, 31, v56
	v_pk_fma_f32 v[58:59], v[92:93], s[2:3], v[58:59]
	v_lshl_add_u64 v[96:97], v[56:57], 4, s[4:5]
	v_pk_fma_f32 v[92:93], v[30:31], s[80:81], v[58:59] op_sel_hi:[1,0,1]
	global_load_dwordx4 v[56:59], v[96:97], off
	s_waitcnt vmcnt(3)
	v_pk_fma_f32 v[92:93], v[70:71], s[10:11], v[92:93]
	v_pk_fma_f32 v[94:95], v[68:69], s[48:49], v[94:95]
	;; [unrolled: 1-line block ×4, first 2 shown]
	v_xor_b32_e32 v77, 0x80000000, v31
	v_xor_b32_e32 v76, 0x80000000, v30
	v_pk_fma_f32 v[76:77], v[76:77], s[82:83], v[70:71] op_sel_hi:[1,0,1]
	v_pk_fma_f32 v[78:79], v[28:29], s[82:83], v[68:69] op_sel_hi:[1,0,1] neg_lo:[1,0,0] neg_hi:[1,0,0]
	global_load_dwordx4 v[68:71], v[96:97], off offset:16
	v_pk_fma_f32 v[62:63], v[62:63], s[10:11], v[76:77]
	v_pk_fma_f32 v[76:77], v[60:61], s[48:49], v[78:79]
	v_xor_b32_e32 v61, 0x80000000, v27
	v_xor_b32_e32 v60, 0x80000000, v26
	v_pk_fma_f32 v[60:61], v[60:61], s[82:83], v[92:93] op_sel_hi:[1,0,1]
	v_pk_fma_f32 v[92:93], v[24:25], s[82:83], v[94:95] op_sel_hi:[1,0,1] neg_lo:[1,0,0] neg_hi:[1,0,0]
	v_lshl_add_u64 v[96:97], v[88:89], 4, s[4:5]
	v_pk_fma_f32 v[94:95], s[80:81], v[26:27], v[62:63] op_sel_hi:[0,1,1] neg_lo:[1,0,0] neg_hi:[1,0,0]
	v_pk_fma_f32 v[76:77], s[80:81], v[24:25], v[76:77] op_sel_hi:[0,1,1] neg_lo:[1,0,0] neg_hi:[1,0,0]
	v_add_u32_e32 v88, 2, v88
	s_waitcnt vmcnt(3)
	v_xor_b32_e32 v79, 0x80000000, v67
	v_xor_b32_e32 v78, 0x80000000, v66
	v_pk_fma_f32 v[78:79], v[78:79], s[52:53], v[60:61]
	global_load_dwordx4 v[60:63], v[96:97], off
	v_pk_fma_f32 v[92:93], v[64:65], s[50:51], v[92:93] neg_lo:[1,0,0] neg_hi:[1,0,0]
	v_pk_fma_f32 v[78:79], v[38:39], s[76:77], v[78:79] op_sel_hi:[1,0,1]
	v_pk_fma_f32 v[92:93], v[36:37], s[76:77], v[92:93] op_sel_hi:[1,0,1]
	s_waitcnt vmcnt(3)
	v_pk_fma_f32 v[78:79], v[74:75], s[56:57], v[78:79]
	v_pk_fma_f32 v[92:93], v[72:73], s[54:55], v[92:93]
	;; [unrolled: 1-line block ×4, first 2 shown]
	global_load_dwordx4 v[72:75], v[96:97], off offset:16
	v_pk_fma_f32 v[76:77], v[36:37], s[78:79], v[76:77] op_sel_hi:[1,0,1] neg_lo:[1,0,0] neg_hi:[1,0,0]
	v_xor_b32_e32 v97, 0x80000000, v39
	v_pk_fma_f32 v[64:65], v[64:65], s[54:55], v[76:77]
	v_xor_b32_e32 v77, 0x80000000, v35
	v_xor_b32_e32 v76, 0x80000000, v34
	;; [unrolled: 1-line block ×3, first 2 shown]
	v_pk_fma_f32 v[76:77], v[76:77], s[78:79], v[78:79] op_sel_hi:[1,0,1]
	v_pk_fma_f32 v[94:95], v[96:97], s[78:79], v[94:95] op_sel_hi:[1,0,1]
	v_pk_fma_f32 v[64:65], s[76:77], v[32:33], v[64:65] op_sel_hi:[0,1,1] neg_lo:[1,0,0] neg_hi:[1,0,0]
	v_pk_fma_f32 v[66:67], v[66:67], s[56:57], v[94:95]
	s_waitcnt vmcnt(3)
	v_xor_b32_e32 v79, 0x80000000, v59
	v_xor_b32_e32 v78, 0x80000000, v58
	v_pk_fma_f32 v[76:77], v[78:79], s[58:59], v[76:77]
	v_pk_fma_f32 v[78:79], v[32:33], s[78:79], v[92:93] op_sel_hi:[1,0,1] neg_lo:[1,0,0] neg_hi:[1,0,0]
	v_pk_fma_f32 v[66:67], s[76:77], v[34:35], v[66:67] op_sel_hi:[0,1,1] neg_lo:[1,0,0] neg_hi:[1,0,0]
	v_pk_fma_f32 v[78:79], v[56:57], s[16:17], v[78:79] neg_lo:[1,0,0] neg_hi:[1,0,0]
	v_pk_fma_f32 v[76:77], v[46:47], s[72:73], v[76:77] op_sel_hi:[1,0,1]
	v_pk_fma_f32 v[78:79], v[44:45], s[72:73], v[78:79] op_sel_hi:[1,0,1]
	s_waitcnt vmcnt(2)
	v_pk_fma_f32 v[64:65], s[16:17], v[68:69], v[64:65]
	v_pk_fma_f32 v[78:79], v[68:69], s[24:25], v[78:79]
	;; [unrolled: 1-line block ×3, first 2 shown]
	v_xor_b32_e32 v69, 0x80000000, v47
	v_xor_b32_e32 v68, 0x80000000, v46
	v_pk_fma_f32 v[64:65], v[44:45], s[74:75], v[64:65] op_sel_hi:[1,0,1] neg_lo:[1,0,0] neg_hi:[1,0,0]
	v_pk_fma_f32 v[76:77], v[70:71], s[60:61], v[76:77]
	v_pk_fma_f32 v[66:67], v[68:69], s[74:75], v[66:67] op_sel_hi:[1,0,1]
	v_pk_fma_f32 v[56:57], v[56:57], s[24:25], v[64:65]
	v_xor_b32_e32 v65, 0x80000000, v43
	v_xor_b32_e32 v64, 0x80000000, v42
	v_pk_fma_f32 v[58:59], v[58:59], s[60:61], v[66:67]
	v_pk_fma_f32 v[64:65], v[64:65], s[74:75], v[76:77] op_sel_hi:[1,0,1]
	v_pk_fma_f32 v[56:57], s[72:73], v[40:41], v[56:57] op_sel_hi:[0,1,1] neg_lo:[1,0,0] neg_hi:[1,0,0]
	v_pk_fma_f32 v[58:59], s[72:73], v[42:43], v[58:59] op_sel_hi:[0,1,1] neg_lo:[1,0,0] neg_hi:[1,0,0]
	v_xor_b32_e32 v69, 0x80000000, v55
	v_xor_b32_e32 v68, 0x80000000, v54
	s_waitcnt vmcnt(1)
	v_xor_b32_e32 v67, 0x80000000, v63
	v_xor_b32_e32 v66, 0x80000000, v62
	v_pk_fma_f32 v[64:65], v[66:67], s[62:63], v[64:65]
	v_pk_fma_f32 v[66:67], v[40:41], s[74:75], v[78:79] op_sel_hi:[1,0,1] neg_lo:[1,0,0] neg_hi:[1,0,0]
	v_pk_fma_f32 v[64:65], v[54:55], s[14:15], v[64:65] op_sel_hi:[1,0,1]
	v_pk_fma_f32 v[66:67], v[60:61], s[20:21], v[66:67] neg_lo:[1,0,0] neg_hi:[1,0,0]
	s_waitcnt vmcnt(0)
	v_pk_fma_f32 v[56:57], s[20:21], v[72:73], v[56:57]
	v_pk_fma_f32 v[66:67], v[52:53], s[14:15], v[66:67] op_sel_hi:[1,0,1]
	v_pk_fma_f32 v[58:59], s[62:63], v[74:75], v[58:59]
	v_pk_fma_f32 v[56:57], v[52:53], s[68:69], v[56:57] op_sel_hi:[1,0,1] neg_lo:[1,0,0] neg_hi:[1,0,0]
	v_pk_fma_f32 v[64:65], v[74:75], s[64:65], v[64:65]
	v_pk_fma_f32 v[66:67], v[72:73], s[0:1], v[66:67]
	v_pk_fma_f32 v[58:59], v[68:69], s[68:69], v[58:59] op_sel_hi:[1,0,1]
	v_pk_fma_f32 v[60:61], v[60:61], s[0:1], v[56:57]
	v_xor_b32_e32 v57, 0x80000000, v51
	v_xor_b32_e32 v56, 0x80000000, v50
	v_pk_fma_f32 v[62:63], v[62:63], s[64:65], v[58:59]
	v_pk_fma_f32 v[58:59], v[56:57], s[68:69], v[64:65] op_sel_hi:[1,0,1]
	v_pk_fma_f32 v[56:57], v[48:49], s[68:69], v[66:67] op_sel_hi:[1,0,1] neg_lo:[1,0,0] neg_hi:[1,0,0]
	global_store_dwordx4 v[86:87], v[56:59], off
	s_nop 1
	v_pk_fma_f32 v[58:59], s[14:15], v[50:51], v[62:63] op_sel_hi:[0,1,1] neg_lo:[1,0,0] neg_hi:[1,0,0]
	v_pk_fma_f32 v[56:57], s[14:15], v[48:49], v[60:61] op_sel_hi:[0,1,1] neg_lo:[1,0,0] neg_hi:[1,0,0]
	global_store_dwordx4 v[86:87], v[56:59], off offset:-16
	v_lshl_add_u64 v[86:87], v[86:87], 0, 32
	s_cbranch_scc1 .LBB22_2
; %bb.3:                                ;   in Loop: Header=BB22_1 Depth=1
	s_add_i32 s33, s33, 1
	s_cmp_eq_u32 s33, 7
	v_add_u32_e32 v84, 14, v84
	s_cbranch_scc0 .LBB22_1
; %bb.4:
	s_endpgm
	.section	.rodata,"a",@progbits
	.p2align	6, 0x0
	.amdhsa_kernel _Z43comm_manual_aosoa_constants_direct_prefetchPK15HIP_vector_typeIfLj2EEPS0_S2_
		.amdhsa_group_segment_fixed_size 0
		.amdhsa_private_segment_fixed_size 0
		.amdhsa_kernarg_size 280
		.amdhsa_user_sgpr_count 2
		.amdhsa_user_sgpr_dispatch_ptr 0
		.amdhsa_user_sgpr_queue_ptr 0
		.amdhsa_user_sgpr_kernarg_segment_ptr 1
		.amdhsa_user_sgpr_dispatch_id 0
		.amdhsa_user_sgpr_kernarg_preload_length 0
		.amdhsa_user_sgpr_kernarg_preload_offset 0
		.amdhsa_user_sgpr_private_segment_size 0
		.amdhsa_uses_dynamic_stack 0
		.amdhsa_enable_private_segment 0
		.amdhsa_system_sgpr_workgroup_id_x 1
		.amdhsa_system_sgpr_workgroup_id_y 0
		.amdhsa_system_sgpr_workgroup_id_z 0
		.amdhsa_system_sgpr_workgroup_info 0
		.amdhsa_system_vgpr_workitem_id 0
		.amdhsa_next_free_vgpr 100
		.amdhsa_next_free_sgpr 92
		.amdhsa_accum_offset 100
		.amdhsa_reserve_vcc 0
		.amdhsa_float_round_mode_32 0
		.amdhsa_float_round_mode_16_64 0
		.amdhsa_float_denorm_mode_32 3
		.amdhsa_float_denorm_mode_16_64 3
		.amdhsa_dx10_clamp 1
		.amdhsa_ieee_mode 1
		.amdhsa_fp16_overflow 0
		.amdhsa_tg_split 0
		.amdhsa_exception_fp_ieee_invalid_op 0
		.amdhsa_exception_fp_denorm_src 0
		.amdhsa_exception_fp_ieee_div_zero 0
		.amdhsa_exception_fp_ieee_overflow 0
		.amdhsa_exception_fp_ieee_underflow 0
		.amdhsa_exception_fp_ieee_inexact 0
		.amdhsa_exception_int_div_zero 0
	.end_amdhsa_kernel
	.text
.Lfunc_end22:
	.size	_Z43comm_manual_aosoa_constants_direct_prefetchPK15HIP_vector_typeIfLj2EEPS0_S2_, .Lfunc_end22-_Z43comm_manual_aosoa_constants_direct_prefetchPK15HIP_vector_typeIfLj2EEPS0_S2_
                                        ; -- End function
	.set _Z43comm_manual_aosoa_constants_direct_prefetchPK15HIP_vector_typeIfLj2EEPS0_S2_.num_vgpr, 100
	.set _Z43comm_manual_aosoa_constants_direct_prefetchPK15HIP_vector_typeIfLj2EEPS0_S2_.num_agpr, 0
	.set _Z43comm_manual_aosoa_constants_direct_prefetchPK15HIP_vector_typeIfLj2EEPS0_S2_.numbered_sgpr, 92
	.set _Z43comm_manual_aosoa_constants_direct_prefetchPK15HIP_vector_typeIfLj2EEPS0_S2_.num_named_barrier, 0
	.set _Z43comm_manual_aosoa_constants_direct_prefetchPK15HIP_vector_typeIfLj2EEPS0_S2_.private_seg_size, 0
	.set _Z43comm_manual_aosoa_constants_direct_prefetchPK15HIP_vector_typeIfLj2EEPS0_S2_.uses_vcc, 0
	.set _Z43comm_manual_aosoa_constants_direct_prefetchPK15HIP_vector_typeIfLj2EEPS0_S2_.uses_flat_scratch, 0
	.set _Z43comm_manual_aosoa_constants_direct_prefetchPK15HIP_vector_typeIfLj2EEPS0_S2_.has_dyn_sized_stack, 0
	.set _Z43comm_manual_aosoa_constants_direct_prefetchPK15HIP_vector_typeIfLj2EEPS0_S2_.has_recursion, 0
	.set _Z43comm_manual_aosoa_constants_direct_prefetchPK15HIP_vector_typeIfLj2EEPS0_S2_.has_indirect_call, 0
	.section	.AMDGPU.csdata,"",@progbits
; Kernel info:
; codeLenInByte = 2388
; TotalNumSgprs: 98
; NumVgprs: 100
; NumAgprs: 0
; TotalNumVgprs: 100
; ScratchSize: 0
; MemoryBound: 1
; FloatMode: 240
; IeeeMode: 1
; LDSByteSize: 0 bytes/workgroup (compile time only)
; SGPRBlocks: 12
; VGPRBlocks: 12
; NumSGPRsForWavesPerEU: 98
; NumVGPRsForWavesPerEU: 100
; AccumOffset: 100
; Occupancy: 4
; WaveLimiterHint : 1
; COMPUTE_PGM_RSRC2:SCRATCH_EN: 0
; COMPUTE_PGM_RSRC2:USER_SGPR: 2
; COMPUTE_PGM_RSRC2:TRAP_HANDLER: 0
; COMPUTE_PGM_RSRC2:TGID_X_EN: 1
; COMPUTE_PGM_RSRC2:TGID_Y_EN: 0
; COMPUTE_PGM_RSRC2:TGID_Z_EN: 0
; COMPUTE_PGM_RSRC2:TIDIG_COMP_CNT: 0
; COMPUTE_PGM_RSRC3_GFX90A:ACCUM_OFFSET: 24
; COMPUTE_PGM_RSRC3_GFX90A:TG_SPLIT: 0
	.text
	.protected	_Z39comm_manual_aosoa_constants_direct_permPK15HIP_vector_typeIfLj2EEPS0_S2_ ; -- Begin function _Z39comm_manual_aosoa_constants_direct_permPK15HIP_vector_typeIfLj2EEPS0_S2_
	.globl	_Z39comm_manual_aosoa_constants_direct_permPK15HIP_vector_typeIfLj2EEPS0_S2_
	.p2align	8
	.type	_Z39comm_manual_aosoa_constants_direct_permPK15HIP_vector_typeIfLj2EEPS0_S2_,@function
_Z39comm_manual_aosoa_constants_direct_permPK15HIP_vector_typeIfLj2EEPS0_S2_: ; @_Z39comm_manual_aosoa_constants_direct_permPK15HIP_vector_typeIfLj2EEPS0_S2_
; %bb.0:
	s_load_dword s3, s[0:1], 0x24
	s_load_dwordx4 s[4:7], s[0:1], 0x0
	s_load_dwordx2 s[12:13], s[0:1], 0x10
	s_mov_b32 s23, 0
	s_mov_b64 s[16:17], 0xc4
	s_waitcnt lgkmcnt(0)
	s_and_b32 s0, s3, 0xffff
	s_mul_i32 s2, s2, s0
	v_add_u32_e32 v0, s2, v0
	s_movk_i32 s0, 0x62
	v_mul_lo_u32 v72, v0, s0
	s_add_u32 s14, s4, 16
	s_addc_u32 s15, s5, 0
	v_mov_b32_e32 v74, v72
.LBB23_1:                               ; =>This Loop Header: Depth=1
                                        ;     Child Loop BB23_2 Depth 2
	v_mad_u64_u32 v[0:1], s[0:1], s23, 14, v[72:73]
	v_add_u32_e32 v2, 2, v0
	v_ashrrev_i32_e32 v3, 31, v2
	v_lshl_add_u64 v[78:79], v[2:3], 4, s[6:7]
	v_add_u32_e32 v2, 4, v0
	v_ashrrev_i32_e32 v3, 31, v2
	v_lshl_add_u64 v[80:81], v[2:3], 4, s[6:7]
	;; [unrolled: 3-line block ×3, first 2 shown]
	v_add_u32_e32 v2, 8, v0
	v_ashrrev_i32_e32 v1, 31, v0
	v_ashrrev_i32_e32 v3, 31, v2
	v_lshl_add_u64 v[76:77], v[0:1], 4, s[6:7]
	v_lshl_add_u64 v[84:85], v[2:3], 4, s[6:7]
	v_add_u32_e32 v2, 10, v0
	v_add_u32_e32 v0, 12, v0
	v_ashrrev_i32_e32 v3, 31, v2
	v_ashrrev_i32_e32 v1, 31, v0
	v_lshl_add_u64 v[86:87], v[2:3], 4, s[6:7]
	v_lshl_add_u64 v[88:89], v[0:1], 4, s[6:7]
	global_load_dwordx4 v[12:15], v[76:77], off offset:16
	global_load_dwordx4 v[0:3], v[76:77], off
	global_load_dwordx4 v[8:11], v[78:79], off offset:16
	global_load_dwordx4 v[4:7], v[78:79], off
	;; [unrolled: 2-line block ×7, first 2 shown]
	v_ashrrev_i32_e32 v75, 31, v74
	v_lshl_add_u64 v[90:91], v[74:75], 4, s[14:15]
	s_mov_b64 s[18:19], 0
	s_mov_b64 s[20:21], s[16:17]
	v_mov_b32_e32 v92, v72
.LBB23_2:                               ;   Parent Loop BB23_1 Depth=1
                                        ; =>  This Inner Loop Header: Depth=2
	s_add_u32 s0, s12, s20
	s_addc_u32 s1, s13, s21
	s_add_u32 s2, s0, 0xffffff3c
	v_ashrrev_i32_e32 v93, 31, v92
	s_addc_u32 s3, s1, -1
	v_lshl_add_u64 v[68:69], v[92:93], 4, s[4:5]
	s_load_dword s24, s[2:3], 0x0
	s_load_dword s22, s[0:1], 0x0
	global_load_dwordx4 v[56:59], v[90:91], off
	global_load_dwordx4 v[60:63], v[90:91], off offset:-16
	global_load_dwordx4 v[64:67], v[68:69], off offset:16
	s_nop 0
	global_load_dwordx4 v[68:71], v[68:69], off
	s_add_u32 s36, s12, s18
	s_addc_u32 s37, s13, s19
	s_load_dwordx4 s[0:3], s[36:37], 0x0
	s_load_dwordx2 s[30:31], s[36:37], 0x10
	s_load_dword s26, s[36:37], 0x18
	s_load_dword s28, s[36:37], 0xdc
	s_load_dwordx2 s[34:35], s[36:37], 0xd4
	s_load_dwordx4 s[8:11], s[36:37], 0xc4
	s_add_u32 s20, s20, 4
	s_addc_u32 s21, s21, 0
	s_add_u32 s18, s18, 28
	s_addc_u32 s19, s19, 0
	v_lshl_add_u64 v[90:91], v[90:91], 0, 32
	s_cmpk_eq_i32 s18, 0xc4
	s_waitcnt vmcnt(3)
	v_xor_b32_e32 v59, 0x80000000, v59
	s_waitcnt vmcnt(1) lgkmcnt(0)
	v_pk_fma_f32 v[0:1], s[24:25], v[64:65], v[0:1] op_sel_hi:[0,1,1]
	s_waitcnt vmcnt(0)
	v_pk_fma_f32 v[12:13], s[24:25], v[68:69], v[12:13] op_sel_hi:[0,1,1] neg_lo:[1,0,0] neg_hi:[1,0,0]
	v_pk_fma_f32 v[12:13], v[60:61], s[0:1], v[12:13] op_sel_hi:[1,0,1]
	v_pk_fma_f32 v[14:15], s[24:25], v[70:71], v[14:15] op_sel_hi:[0,1,1] neg_lo:[1,0,0] neg_hi:[1,0,0]
	v_pk_fma_f32 v[12:13], s[22:23], v[64:65], v[12:13] op_sel_hi:[0,1,1]
	v_add_u32_e32 v64, 2, v92
	v_pk_fma_f32 v[2:3], s[24:25], v[66:67], v[2:3] op_sel_hi:[0,1,1]
	v_xor_b32_e32 v95, 0x80000000, v63
	v_xor_b32_e32 v94, 0x80000000, v62
	v_pk_fma_f32 v[0:1], v[60:61], s[8:9], v[0:1] op_sel_hi:[1,0,1] neg_lo:[1,0,0] neg_hi:[1,0,0]
	v_ashrrev_i32_e32 v65, 31, v64
	v_pk_fma_f32 v[14:15], v[62:63], s[0:1], v[14:15] op_sel_hi:[1,0,1]
	v_pk_fma_f32 v[2:3], v[94:95], s[8:9], v[2:3] op_sel_hi:[1,0,1]
	;; [unrolled: 1-line block ×3, first 2 shown]
	v_lshl_add_u64 v[68:69], v[64:65], 4, s[4:5]
	v_pk_fma_f32 v[14:15], s[22:23], v[66:67], v[14:15] op_sel_hi:[0,1,1]
	v_pk_fma_f32 v[2:3], s[22:23], v[70:71], v[2:3] op_sel_hi:[0,1,1]
	global_load_dwordx4 v[64:67], v[68:69], off offset:16
	s_nop 0
	global_load_dwordx4 v[68:71], v[68:69], off
	v_xor_b32_e32 v58, 0x80000000, v58
	v_pk_fma_f32 v[2:3], v[58:59], s[0:1], v[2:3] op_sel_hi:[1,0,1]
	v_pk_fma_f32 v[0:1], v[56:57], s[0:1], v[0:1] op_sel_hi:[1,0,1] neg_lo:[1,0,0] neg_hi:[1,0,0]
	v_pk_fma_f32 v[14:15], v[58:59], s[8:9], v[14:15] op_sel_hi:[1,0,1]
	v_pk_fma_f32 v[12:13], v[56:57], s[8:9], v[12:13] op_sel_hi:[1,0,1] neg_lo:[1,0,0] neg_hi:[1,0,0]
	s_waitcnt vmcnt(1)
	v_pk_fma_f32 v[4:5], s[24:25], v[64:65], v[4:5] op_sel_hi:[0,1,1]
	s_waitcnt vmcnt(0)
	v_pk_fma_f32 v[8:9], s[24:25], v[68:69], v[8:9] op_sel_hi:[0,1,1] neg_lo:[1,0,0] neg_hi:[1,0,0]
	v_pk_fma_f32 v[8:9], v[60:61], s[0:1], v[8:9] op_sel:[0,1,0]
	v_pk_fma_f32 v[10:11], s[24:25], v[70:71], v[10:11] op_sel_hi:[0,1,1] neg_lo:[1,0,0] neg_hi:[1,0,0]
	v_pk_fma_f32 v[8:9], s[22:23], v[64:65], v[8:9] op_sel_hi:[0,1,1]
	v_add_u32_e32 v64, 4, v92
	v_pk_fma_f32 v[6:7], s[24:25], v[66:67], v[6:7] op_sel_hi:[0,1,1]
	v_pk_fma_f32 v[4:5], v[60:61], s[8:9], v[4:5] op_sel:[0,1,0] neg_lo:[1,0,0] neg_hi:[1,0,0]
	v_ashrrev_i32_e32 v65, 31, v64
	v_pk_fma_f32 v[10:11], v[62:63], s[0:1], v[10:11] op_sel:[0,1,0]
	v_pk_fma_f32 v[6:7], v[94:95], s[8:9], v[6:7] op_sel:[0,1,0]
	v_pk_fma_f32 v[4:5], s[22:23], v[68:69], v[4:5] op_sel_hi:[0,1,1]
	v_lshl_add_u64 v[68:69], v[64:65], 4, s[4:5]
	v_pk_fma_f32 v[10:11], s[22:23], v[66:67], v[10:11] op_sel_hi:[0,1,1]
	v_pk_fma_f32 v[6:7], s[22:23], v[70:71], v[6:7] op_sel_hi:[0,1,1]
	global_load_dwordx4 v[64:67], v[68:69], off offset:16
	s_nop 0
	global_load_dwordx4 v[68:71], v[68:69], off
	v_pk_fma_f32 v[6:7], v[58:59], s[0:1], v[6:7] op_sel:[0,1,0]
	v_pk_fma_f32 v[4:5], v[56:57], s[0:1], v[4:5] op_sel:[0,1,0] neg_lo:[1,0,0] neg_hi:[1,0,0]
	s_mov_b32 s0, s3
	v_pk_fma_f32 v[10:11], v[58:59], s[8:9], v[10:11] op_sel:[0,1,0]
	v_pk_fma_f32 v[8:9], v[56:57], s[8:9], v[8:9] op_sel:[0,1,0] neg_lo:[1,0,0] neg_hi:[1,0,0]
	s_waitcnt vmcnt(1)
	v_pk_fma_f32 v[16:17], s[24:25], v[64:65], v[16:17] op_sel_hi:[0,1,1]
	s_waitcnt vmcnt(0)
	v_pk_fma_f32 v[20:21], s[24:25], v[68:69], v[20:21] op_sel_hi:[0,1,1] neg_lo:[1,0,0] neg_hi:[1,0,0]
	v_pk_fma_f32 v[20:21], v[60:61], s[2:3], v[20:21] op_sel_hi:[1,0,1]
	v_pk_fma_f32 v[22:23], s[24:25], v[70:71], v[22:23] op_sel_hi:[0,1,1] neg_lo:[1,0,0] neg_hi:[1,0,0]
	v_pk_fma_f32 v[20:21], s[22:23], v[64:65], v[20:21] op_sel_hi:[0,1,1]
	v_add_u32_e32 v64, 6, v92
	v_pk_fma_f32 v[18:19], s[24:25], v[66:67], v[18:19] op_sel_hi:[0,1,1]
	v_pk_fma_f32 v[16:17], v[60:61], s[10:11], v[16:17] op_sel_hi:[1,0,1] neg_lo:[1,0,0] neg_hi:[1,0,0]
	v_ashrrev_i32_e32 v65, 31, v64
	v_pk_fma_f32 v[22:23], v[62:63], s[2:3], v[22:23] op_sel_hi:[1,0,1]
	v_pk_fma_f32 v[18:19], v[94:95], s[10:11], v[18:19] op_sel_hi:[1,0,1]
	;; [unrolled: 1-line block ×3, first 2 shown]
	v_lshl_add_u64 v[68:69], v[64:65], 4, s[4:5]
	v_pk_fma_f32 v[22:23], s[22:23], v[66:67], v[22:23] op_sel_hi:[0,1,1]
	v_pk_fma_f32 v[18:19], s[22:23], v[70:71], v[18:19] op_sel_hi:[0,1,1]
	global_load_dwordx4 v[64:67], v[68:69], off offset:16
	s_nop 0
	global_load_dwordx4 v[68:71], v[68:69], off
	v_pk_fma_f32 v[18:19], v[58:59], s[2:3], v[18:19] op_sel_hi:[1,0,1]
	v_pk_fma_f32 v[16:17], v[56:57], s[2:3], v[16:17] op_sel_hi:[1,0,1] neg_lo:[1,0,0] neg_hi:[1,0,0]
	s_mov_b32 s2, s11
	v_pk_fma_f32 v[22:23], v[58:59], s[10:11], v[22:23] op_sel_hi:[1,0,1]
	v_pk_fma_f32 v[20:21], v[56:57], s[10:11], v[20:21] op_sel_hi:[1,0,1] neg_lo:[1,0,0] neg_hi:[1,0,0]
	s_waitcnt vmcnt(1)
	v_pk_fma_f32 v[24:25], s[24:25], v[64:65], v[24:25] op_sel_hi:[0,1,1]
	s_waitcnt vmcnt(0)
	v_pk_fma_f32 v[28:29], s[24:25], v[68:69], v[28:29] op_sel_hi:[0,1,1] neg_lo:[1,0,0] neg_hi:[1,0,0]
	v_pk_fma_f32 v[28:29], v[60:61], s[0:1], v[28:29] op_sel_hi:[1,0,1]
	v_pk_fma_f32 v[30:31], s[24:25], v[70:71], v[30:31] op_sel_hi:[0,1,1] neg_lo:[1,0,0] neg_hi:[1,0,0]
	v_pk_fma_f32 v[28:29], s[22:23], v[64:65], v[28:29] op_sel_hi:[0,1,1]
	v_add_u32_e32 v64, 8, v92
	v_pk_fma_f32 v[26:27], s[24:25], v[66:67], v[26:27] op_sel_hi:[0,1,1]
	v_pk_fma_f32 v[24:25], v[60:61], s[2:3], v[24:25] op_sel_hi:[1,0,1] neg_lo:[1,0,0] neg_hi:[1,0,0]
	v_ashrrev_i32_e32 v65, 31, v64
	v_pk_fma_f32 v[30:31], v[62:63], s[0:1], v[30:31] op_sel_hi:[1,0,1]
	v_pk_fma_f32 v[26:27], v[94:95], s[2:3], v[26:27] op_sel_hi:[1,0,1]
	;; [unrolled: 1-line block ×3, first 2 shown]
	v_lshl_add_u64 v[68:69], v[64:65], 4, s[4:5]
	v_pk_fma_f32 v[30:31], s[22:23], v[66:67], v[30:31] op_sel_hi:[0,1,1]
	v_pk_fma_f32 v[26:27], s[22:23], v[70:71], v[26:27] op_sel_hi:[0,1,1]
	global_load_dwordx4 v[64:67], v[68:69], off offset:16
	s_nop 0
	global_load_dwordx4 v[68:71], v[68:69], off
	v_pk_fma_f32 v[30:31], v[58:59], s[2:3], v[30:31] op_sel_hi:[1,0,1]
	v_pk_fma_f32 v[28:29], v[56:57], s[2:3], v[28:29] op_sel_hi:[1,0,1] neg_lo:[1,0,0] neg_hi:[1,0,0]
	v_pk_fma_f32 v[26:27], v[58:59], s[0:1], v[26:27] op_sel_hi:[1,0,1]
	v_pk_fma_f32 v[24:25], v[56:57], s[0:1], v[24:25] op_sel_hi:[1,0,1] neg_lo:[1,0,0] neg_hi:[1,0,0]
	s_waitcnt vmcnt(1)
	v_pk_fma_f32 v[32:33], s[24:25], v[64:65], v[32:33] op_sel_hi:[0,1,1]
	s_waitcnt vmcnt(0)
	v_pk_fma_f32 v[36:37], s[24:25], v[68:69], v[36:37] op_sel_hi:[0,1,1] neg_lo:[1,0,0] neg_hi:[1,0,0]
	v_pk_fma_f32 v[36:37], v[60:61], s[30:31], v[36:37] op_sel_hi:[1,0,1]
	v_pk_fma_f32 v[38:39], s[24:25], v[70:71], v[38:39] op_sel_hi:[0,1,1] neg_lo:[1,0,0] neg_hi:[1,0,0]
	v_pk_fma_f32 v[36:37], s[22:23], v[64:65], v[36:37] op_sel_hi:[0,1,1]
	v_add_u32_e32 v64, 10, v92
	v_pk_fma_f32 v[34:35], s[24:25], v[66:67], v[34:35] op_sel_hi:[0,1,1]
	v_pk_fma_f32 v[32:33], v[60:61], s[34:35], v[32:33] op_sel_hi:[1,0,1] neg_lo:[1,0,0] neg_hi:[1,0,0]
	v_ashrrev_i32_e32 v65, 31, v64
	v_pk_fma_f32 v[38:39], v[62:63], s[30:31], v[38:39] op_sel_hi:[1,0,1]
	v_pk_fma_f32 v[34:35], v[94:95], s[34:35], v[34:35] op_sel_hi:[1,0,1]
	;; [unrolled: 1-line block ×3, first 2 shown]
	v_lshl_add_u64 v[68:69], v[64:65], 4, s[4:5]
	v_pk_fma_f32 v[38:39], s[22:23], v[66:67], v[38:39] op_sel_hi:[0,1,1]
	v_pk_fma_f32 v[34:35], s[22:23], v[70:71], v[34:35] op_sel_hi:[0,1,1]
	global_load_dwordx4 v[64:67], v[68:69], off offset:16
	s_nop 0
	global_load_dwordx4 v[68:71], v[68:69], off
	v_pk_fma_f32 v[38:39], v[58:59], s[34:35], v[38:39] op_sel_hi:[1,0,1]
	v_pk_fma_f32 v[36:37], v[56:57], s[34:35], v[36:37] op_sel_hi:[1,0,1] neg_lo:[1,0,0] neg_hi:[1,0,0]
	v_pk_fma_f32 v[34:35], v[58:59], s[30:31], v[34:35] op_sel_hi:[1,0,1]
	v_pk_fma_f32 v[32:33], v[56:57], s[30:31], v[32:33] op_sel_hi:[1,0,1] neg_lo:[1,0,0] neg_hi:[1,0,0]
	s_waitcnt vmcnt(1)
	v_pk_fma_f32 v[40:41], s[24:25], v[64:65], v[40:41] op_sel_hi:[0,1,1]
	s_waitcnt vmcnt(0)
	v_pk_fma_f32 v[44:45], s[24:25], v[68:69], v[44:45] op_sel_hi:[0,1,1] neg_lo:[1,0,0] neg_hi:[1,0,0]
	v_pk_fma_f32 v[44:45], v[60:61], s[30:31], v[44:45] op_sel:[0,1,0]
	v_pk_fma_f32 v[46:47], s[24:25], v[70:71], v[46:47] op_sel_hi:[0,1,1] neg_lo:[1,0,0] neg_hi:[1,0,0]
	v_pk_fma_f32 v[44:45], s[22:23], v[64:65], v[44:45] op_sel_hi:[0,1,1]
	v_add_u32_e32 v64, 12, v92
	v_pk_fma_f32 v[42:43], s[24:25], v[66:67], v[42:43] op_sel_hi:[0,1,1]
	v_ashrrev_i32_e32 v65, 31, v64
	v_pk_fma_f32 v[46:47], v[62:63], s[30:31], v[46:47] op_sel:[0,1,0]
	v_pk_fma_f32 v[42:43], v[94:95], s[34:35], v[42:43] op_sel:[0,1,0]
	v_pk_fma_f32 v[40:41], v[60:61], s[34:35], v[40:41] op_sel:[0,1,0] neg_lo:[1,0,0] neg_hi:[1,0,0]
	v_lshl_add_u64 v[64:65], v[64:65], 4, s[4:5]
	v_pk_fma_f32 v[46:47], s[22:23], v[66:67], v[46:47] op_sel_hi:[0,1,1]
	v_pk_fma_f32 v[42:43], s[22:23], v[70:71], v[42:43] op_sel_hi:[0,1,1]
	v_pk_fma_f32 v[40:41], s[22:23], v[68:69], v[40:41] op_sel_hi:[0,1,1]
	global_load_dwordx4 v[68:71], v[64:65], off offset:16
	s_nop 0
	global_load_dwordx4 v[64:67], v[64:65], off
	v_pk_fma_f32 v[46:47], v[58:59], s[34:35], v[46:47] op_sel:[0,1,0]
	v_pk_fma_f32 v[44:45], v[56:57], s[34:35], v[44:45] op_sel:[0,1,0] neg_lo:[1,0,0] neg_hi:[1,0,0]
	v_pk_fma_f32 v[42:43], v[58:59], s[30:31], v[42:43] op_sel:[0,1,0]
	v_pk_fma_f32 v[40:41], v[56:57], s[30:31], v[40:41] op_sel:[0,1,0] neg_lo:[1,0,0] neg_hi:[1,0,0]
	v_add_u32_e32 v92, 14, v92
	s_waitcnt vmcnt(1)
	v_pk_fma_f32 v[50:51], s[24:25], v[70:71], v[50:51] op_sel_hi:[0,1,1]
	s_waitcnt vmcnt(0)
	v_pk_fma_f32 v[54:55], s[24:25], v[66:67], v[54:55] op_sel_hi:[0,1,1] neg_lo:[1,0,0] neg_hi:[1,0,0]
	v_pk_fma_f32 v[52:53], s[24:25], v[64:65], v[52:53] op_sel_hi:[0,1,1] neg_lo:[1,0,0] neg_hi:[1,0,0]
	v_pk_fma_f32 v[48:49], s[24:25], v[68:69], v[48:49] op_sel_hi:[0,1,1]
	v_pk_fma_f32 v[54:55], v[62:63], s[26:27], v[54:55] op_sel_hi:[1,0,1]
	;; [unrolled: 1-line block ×4, first 2 shown]
	v_pk_fma_f32 v[48:49], v[60:61], s[28:29], v[48:49] op_sel_hi:[1,0,1] neg_lo:[1,0,0] neg_hi:[1,0,0]
	v_pk_fma_f32 v[54:55], s[22:23], v[70:71], v[54:55] op_sel_hi:[0,1,1]
	v_pk_fma_f32 v[52:53], s[22:23], v[68:69], v[52:53] op_sel_hi:[0,1,1]
	;; [unrolled: 1-line block ×5, first 2 shown]
	v_pk_fma_f32 v[52:53], v[56:57], s[28:29], v[52:53] op_sel_hi:[1,0,1] neg_lo:[1,0,0] neg_hi:[1,0,0]
	v_pk_fma_f32 v[50:51], v[58:59], s[26:27], v[50:51] op_sel_hi:[1,0,1]
	v_pk_fma_f32 v[48:49], v[56:57], s[26:27], v[48:49] op_sel_hi:[1,0,1] neg_lo:[1,0,0] neg_hi:[1,0,0]
	s_cbranch_scc0 .LBB23_2
; %bb.3:                                ;   in Loop: Header=BB23_1 Depth=1
	s_add_i32 s23, s23, 1
	s_add_u32 s16, s16, 28
	s_addc_u32 s17, s17, 0
	s_cmp_eq_u32 s23, 7
	v_add_u32_e32 v74, 14, v74
	global_store_dwordx4 v[76:77], v[12:15], off offset:16
	global_store_dwordx4 v[76:77], v[0:3], off
	global_store_dwordx4 v[78:79], v[8:11], off offset:16
	global_store_dwordx4 v[78:79], v[4:7], off
	;; [unrolled: 2-line block ×7, first 2 shown]
	s_cbranch_scc0 .LBB23_1
; %bb.4:
	s_endpgm
	.section	.rodata,"a",@progbits
	.p2align	6, 0x0
	.amdhsa_kernel _Z39comm_manual_aosoa_constants_direct_permPK15HIP_vector_typeIfLj2EEPS0_S2_
		.amdhsa_group_segment_fixed_size 0
		.amdhsa_private_segment_fixed_size 0
		.amdhsa_kernarg_size 280
		.amdhsa_user_sgpr_count 2
		.amdhsa_user_sgpr_dispatch_ptr 0
		.amdhsa_user_sgpr_queue_ptr 0
		.amdhsa_user_sgpr_kernarg_segment_ptr 1
		.amdhsa_user_sgpr_dispatch_id 0
		.amdhsa_user_sgpr_kernarg_preload_length 0
		.amdhsa_user_sgpr_kernarg_preload_offset 0
		.amdhsa_user_sgpr_private_segment_size 0
		.amdhsa_uses_dynamic_stack 0
		.amdhsa_enable_private_segment 0
		.amdhsa_system_sgpr_workgroup_id_x 1
		.amdhsa_system_sgpr_workgroup_id_y 0
		.amdhsa_system_sgpr_workgroup_id_z 0
		.amdhsa_system_sgpr_workgroup_info 0
		.amdhsa_system_vgpr_workitem_id 0
		.amdhsa_next_free_vgpr 96
		.amdhsa_next_free_sgpr 38
		.amdhsa_accum_offset 96
		.amdhsa_reserve_vcc 0
		.amdhsa_float_round_mode_32 0
		.amdhsa_float_round_mode_16_64 0
		.amdhsa_float_denorm_mode_32 3
		.amdhsa_float_denorm_mode_16_64 3
		.amdhsa_dx10_clamp 1
		.amdhsa_ieee_mode 1
		.amdhsa_fp16_overflow 0
		.amdhsa_tg_split 0
		.amdhsa_exception_fp_ieee_invalid_op 0
		.amdhsa_exception_fp_denorm_src 0
		.amdhsa_exception_fp_ieee_div_zero 0
		.amdhsa_exception_fp_ieee_overflow 0
		.amdhsa_exception_fp_ieee_underflow 0
		.amdhsa_exception_fp_ieee_inexact 0
		.amdhsa_exception_int_div_zero 0
	.end_amdhsa_kernel
	.text
.Lfunc_end23:
	.size	_Z39comm_manual_aosoa_constants_direct_permPK15HIP_vector_typeIfLj2EEPS0_S2_, .Lfunc_end23-_Z39comm_manual_aosoa_constants_direct_permPK15HIP_vector_typeIfLj2EEPS0_S2_
                                        ; -- End function
	.set _Z39comm_manual_aosoa_constants_direct_permPK15HIP_vector_typeIfLj2EEPS0_S2_.num_vgpr, 96
	.set _Z39comm_manual_aosoa_constants_direct_permPK15HIP_vector_typeIfLj2EEPS0_S2_.num_agpr, 0
	.set _Z39comm_manual_aosoa_constants_direct_permPK15HIP_vector_typeIfLj2EEPS0_S2_.numbered_sgpr, 38
	.set _Z39comm_manual_aosoa_constants_direct_permPK15HIP_vector_typeIfLj2EEPS0_S2_.num_named_barrier, 0
	.set _Z39comm_manual_aosoa_constants_direct_permPK15HIP_vector_typeIfLj2EEPS0_S2_.private_seg_size, 0
	.set _Z39comm_manual_aosoa_constants_direct_permPK15HIP_vector_typeIfLj2EEPS0_S2_.uses_vcc, 0
	.set _Z39comm_manual_aosoa_constants_direct_permPK15HIP_vector_typeIfLj2EEPS0_S2_.uses_flat_scratch, 0
	.set _Z39comm_manual_aosoa_constants_direct_permPK15HIP_vector_typeIfLj2EEPS0_S2_.has_dyn_sized_stack, 0
	.set _Z39comm_manual_aosoa_constants_direct_permPK15HIP_vector_typeIfLj2EEPS0_S2_.has_recursion, 0
	.set _Z39comm_manual_aosoa_constants_direct_permPK15HIP_vector_typeIfLj2EEPS0_S2_.has_indirect_call, 0
	.section	.AMDGPU.csdata,"",@progbits
; Kernel info:
; codeLenInByte = 1860
; TotalNumSgprs: 44
; NumVgprs: 96
; NumAgprs: 0
; TotalNumVgprs: 96
; ScratchSize: 0
; MemoryBound: 1
; FloatMode: 240
; IeeeMode: 1
; LDSByteSize: 0 bytes/workgroup (compile time only)
; SGPRBlocks: 5
; VGPRBlocks: 11
; NumSGPRsForWavesPerEU: 44
; NumVGPRsForWavesPerEU: 96
; AccumOffset: 96
; Occupancy: 5
; WaveLimiterHint : 1
; COMPUTE_PGM_RSRC2:SCRATCH_EN: 0
; COMPUTE_PGM_RSRC2:USER_SGPR: 2
; COMPUTE_PGM_RSRC2:TRAP_HANDLER: 0
; COMPUTE_PGM_RSRC2:TGID_X_EN: 1
; COMPUTE_PGM_RSRC2:TGID_Y_EN: 0
; COMPUTE_PGM_RSRC2:TGID_Z_EN: 0
; COMPUTE_PGM_RSRC2:TIDIG_COMP_CNT: 0
; COMPUTE_PGM_RSRC3_GFX90A:ACCUM_OFFSET: 23
; COMPUTE_PGM_RSRC3_GFX90A:TG_SPLIT: 0
	.text
	.protected	_Z16final_gpu_kernelPK15HIP_vector_typeIfLj2EEPS0_S2_i ; -- Begin function _Z16final_gpu_kernelPK15HIP_vector_typeIfLj2EEPS0_S2_i
	.globl	_Z16final_gpu_kernelPK15HIP_vector_typeIfLj2EEPS0_S2_i
	.p2align	8
	.type	_Z16final_gpu_kernelPK15HIP_vector_typeIfLj2EEPS0_S2_i,@function
_Z16final_gpu_kernelPK15HIP_vector_typeIfLj2EEPS0_S2_i: ; @_Z16final_gpu_kernelPK15HIP_vector_typeIfLj2EEPS0_S2_i
; %bb.0:
	v_and_b32_e32 v1, 0x3ff, v0
	v_bfe_u32 v0, v0, 10, 10
	v_cmp_gt_u32_e32 vcc, 49, v1
	v_cmp_eq_u32_e64 s[4:5], 0, v0
	s_and_b64 s[6:7], vcc, s[4:5]
	v_lshlrev_b32_e32 v2, 2, v1
	s_and_saveexec_b64 s[4:5], s[6:7]
	s_cbranch_execz .LBB24_2
; %bb.1:
	s_load_dwordx2 s[6:7], s[0:1], 0x10
	v_lshlrev_b32_e32 v3, 3, v1
	s_waitcnt lgkmcnt(0)
	global_load_dwordx2 v[4:5], v3, s[6:7]
	v_add_u32_e32 v3, 0x400, v2
	s_waitcnt vmcnt(0)
	ds_write2_b32 v3, v5, v4 offset0:136 offset1:188
.LBB24_2:
	s_or_b64 exec, exec, s[4:5]
	s_load_dword s3, s[0:1], 0x18
	v_lshlrev_b32_e32 v3, 4, v0
	v_lshl_add_u32 v16, s2, 5, v3
	s_waitcnt lgkmcnt(0)
	v_cmp_gt_i32_e64 s[4:5], s3, v16
	s_and_saveexec_b64 s[6:7], s[4:5]
	s_cbranch_execz .LBB24_9
; %bb.3:
	v_mul_u32_u24_e32 v3, 0x2493, v1
	v_mov_b32_e32 v4, 7
	v_mul_lo_u16_sdwa v3, v3, v4 dst_sel:DWORD dst_unused:UNUSED_PAD src0_sel:WORD_1 src1_sel:DWORD
	v_add_u32_e32 v4, 16, v16
	s_load_dwordx4 s[4:7], s[0:1], 0x0
	v_min_i32_e32 v17, s3, v4
	s_movk_i32 s0, 0xc4
	v_mov_b32_e32 v4, 0x310
	v_sub_u16_e32 v3, v1, v3
	v_mad_u32_u24 v4, v0, s0, v4
	v_add_u32_e32 v18, v4, v2
	v_mad_u32_u24 v19, v0, s0, v2
	v_sub_u32_e32 v2, v1, v3
	v_lshlrev_b32_e32 v3, 2, v3
	v_lshlrev_b32_e32 v2, 2, v2
	v_mad_u32_u24 v21, v0, s0, v3
	v_mad_u32_u24 v25, v0, s0, v2
	s_mulk_i32 s2, 0x620
	v_mul_u32_u24_e32 v0, 0x310, v0
	v_add_u32_e32 v20, v4, v3
	v_add_u32_e32 v22, 0x6f0, v2
	;; [unrolled: 1-line block ×6, first 2 shown]
	v_add3_u32 v0, v1, s2, v0
	s_mov_b64 s[2:3], 0
                                        ; implicit-def: $vgpr12
                                        ; implicit-def: $vgpr14
	s_branch .LBB24_5
.LBB24_4:                               ;   in Loop: Header=BB24_5 Depth=1
	s_or_b64 exec, exec, s[0:1]
	v_add_u32_e32 v16, 2, v16
	v_cmp_ge_i32_e64 s[0:1], v16, v17
	v_add_u32_e32 v0, 0x62, v0
	s_or_b64 s[2:3], s[0:1], s[2:3]
	v_mov_b32_e32 v12, v6
	v_mov_b32_e32 v13, v4
	;; [unrolled: 1-line block ×4, first 2 shown]
	s_andn2_b64 exec, exec, s[2:3]
	s_cbranch_execz .LBB24_9
.LBB24_5:                               ; =>This Inner Loop Header: Depth=1
	v_add_u32_e32 v2, 49, v0
	v_ashrrev_i32_e32 v1, 31, v0
	v_ashrrev_i32_e32 v3, 31, v2
	v_mov_b32_e32 v7, v14
	v_mov_b32_e32 v5, v15
	;; [unrolled: 1-line block ×4, first 2 shown]
	s_waitcnt lgkmcnt(0)
	s_barrier
	s_and_saveexec_b64 s[0:1], vcc
	s_cbranch_execz .LBB24_7
; %bb.6:                                ;   in Loop: Header=BB24_5 Depth=1
	v_lshlrev_b64 v[4:5], 3, v[0:1]
	v_lshlrev_b64 v[8:9], 3, v[2:3]
	v_lshl_add_u64 v[6:7], s[4:5], 0, v[4:5]
	v_lshl_add_u64 v[10:11], s[4:5], 0, v[8:9]
	global_load_dwordx2 v[12:13], v[6:7], off
	global_load_dwordx2 v[14:15], v[10:11], off
	v_lshl_add_u64 v[10:11], s[6:7], 0, v[4:5]
	v_lshl_add_u64 v[8:9], s[6:7], 0, v[8:9]
	global_load_dwordx2 v[6:7], v[10:11], off
	global_load_dwordx2 v[4:5], v[8:9], off
	s_waitcnt vmcnt(2)
	ds_write2_b32 v18, v12, v14 offset1:98
	ds_write2_b32 v19, v13, v15 offset1:98
	s_waitcnt vmcnt(1)
	v_mov_b32_e32 v12, v6
	s_waitcnt vmcnt(0)
	v_mov_b32_e32 v13, v4
	v_mov_b32_e32 v14, v7
	;; [unrolled: 1-line block ×3, first 2 shown]
.LBB24_7:                               ;   in Loop: Header=BB24_5 Depth=1
	s_or_b64 exec, exec, s[0:1]
	s_waitcnt lgkmcnt(0)
	s_barrier
	s_and_saveexec_b64 s[0:1], vcc
	s_cbranch_execz .LBB24_4
; %bb.8:                                ;   in Loop: Header=BB24_5 Depth=1
	ds_read2_b32 v[4:5], v20 offset0:42 offset1:98
	ds_read2_b32 v[28:29], v20 offset1:7
	ds_read2_b32 v[8:9], v20 offset0:14 offset1:21
	ds_read2_b32 v[6:7], v21 offset0:42 offset1:98
	ds_read2_b32 v[32:33], v21 offset1:7
	ds_read2_b32 v[10:11], v21 offset0:14 offset1:21
	ds_read2_b32 v[36:37], v22 offset1:1
	ds_read2_b32 v[38:39], v23 offset1:1
	s_waitcnt lgkmcnt(6)
	v_mov_b32_e32 v30, v28
	v_mov_b32_e32 v31, v5
	s_waitcnt lgkmcnt(3)
	v_mov_b32_e32 v34, v32
	v_mov_b32_e32 v35, v7
	s_waitcnt lgkmcnt(1)
	v_pk_fma_f32 v[12:13], v[34:35], v[36:37], v[12:13] op_sel_hi:[1,0,1]
	v_pk_fma_f32 v[14:15], v[30:31], v[36:37], v[14:15] op_sel_hi:[1,0,1] neg_lo:[1,0,0] neg_hi:[1,0,0]
	s_waitcnt lgkmcnt(0)
	v_pk_fma_f32 v[12:13], v[30:31], v[38:39], v[12:13] op_sel_hi:[1,0,1]
	v_pk_fma_f32 v[14:15], v[34:35], v[38:39], v[14:15] op_sel_hi:[1,0,1]
	ds_read2_b32 v[30:31], v24 offset1:1
	ds_read2_b32 v[34:35], v24 offset0:98 offset1:99
	ds_read2_b32 v[42:43], v25 offset1:1
	ds_read2_b32 v[44:45], v25 offset0:98 offset1:99
	;; [unrolled: 2-line block ×4, first 2 shown]
	s_waitcnt lgkmcnt(7)
	v_mov_b32_e32 v40, v30
	s_waitcnt lgkmcnt(6)
	v_mov_b32_e32 v41, v34
	;; [unrolled: 2-line block ×4, first 2 shown]
	s_waitcnt lgkmcnt(3)
	v_pk_fma_f32 v[12:13], v[46:47], v[48:49], v[12:13] op_sel_hi:[1,0,1] neg_lo:[1,0,0] neg_hi:[1,0,0]
	v_pk_fma_f32 v[14:15], v[40:41], v[48:49], v[14:15] op_sel_hi:[1,0,1]
	s_waitcnt lgkmcnt(1)
	v_pk_fma_f32 v[12:13], v[40:41], v[52:53], v[12:13] op_sel_hi:[1,0,1]
	v_pk_fma_f32 v[14:15], v[46:47], v[52:53], v[14:15] op_sel_hi:[1,0,1] neg_lo:[1,0,0] neg_hi:[1,0,0]
	ds_read2_b32 v[40:41], v20 offset0:105 offset1:112
	ds_read2_b32 v[46:47], v21 offset0:105 offset1:112
	v_mov_b32_e32 v28, v29
	v_mov_b32_e32 v32, v33
	;; [unrolled: 1-line block ×3, first 2 shown]
	s_waitcnt lgkmcnt(1)
	v_mov_b32_e32 v29, v40
	s_waitcnt lgkmcnt(0)
	v_mov_b32_e32 v33, v46
	v_pk_fma_f32 v[12:13], v[32:33], v[36:37], v[12:13] op_sel:[0,1,0]
	v_pk_fma_f32 v[14:15], v[28:29], v[36:37], v[14:15] op_sel:[0,1,0] neg_lo:[1,0,0] neg_hi:[1,0,0]
	v_pk_fma_f32 v[12:13], v[28:29], v[38:39], v[12:13] op_sel:[0,1,0]
	v_pk_fma_f32 v[14:15], v[32:33], v[38:39], v[14:15] op_sel:[0,1,0]
	v_mov_b32_e32 v44, v43
	v_mov_b32_e32 v28, v49
	v_pk_fma_f32 v[12:13], v[44:45], v[28:29], v[12:13] op_sel_hi:[1,0,1] neg_lo:[1,0,0] neg_hi:[1,0,0]
	v_mov_b32_e32 v30, v53
	v_pk_fma_f32 v[14:15], v[34:35], v[28:29], v[14:15] op_sel_hi:[1,0,1]
	ds_read2_b32 v[28:29], v22 offset0:2 offset1:3
	v_pk_fma_f32 v[12:13], v[34:35], v[30:31], v[12:13] op_sel_hi:[1,0,1]
	v_pk_fma_f32 v[14:15], v[44:45], v[30:31], v[14:15] op_sel_hi:[1,0,1] neg_lo:[1,0,0] neg_hi:[1,0,0]
	ds_read2_b32 v[30:31], v23 offset0:2 offset1:3
	v_mov_b32_e32 v46, v10
	v_mov_b32_e32 v40, v8
	s_waitcnt lgkmcnt(1)
	v_pk_fma_f32 v[12:13], v[46:47], v[28:29], v[12:13] op_sel_hi:[1,0,1]
	ds_read2_b32 v[32:33], v24 offset0:2 offset1:3
	ds_read2_b32 v[34:35], v24 offset0:100 offset1:101
	s_waitcnt lgkmcnt(2)
	v_pk_fma_f32 v[12:13], v[40:41], v[30:31], v[12:13] op_sel_hi:[1,0,1]
	v_pk_fma_f32 v[14:15], v[40:41], v[28:29], v[14:15] op_sel_hi:[1,0,1] neg_lo:[1,0,0] neg_hi:[1,0,0]
	ds_read2_b32 v[38:39], v25 offset0:2 offset1:3
	ds_read2_b32 v[40:41], v25 offset0:100 offset1:101
	v_pk_fma_f32 v[14:15], v[46:47], v[30:31], v[14:15] op_sel_hi:[1,0,1]
	s_waitcnt lgkmcnt(3)
	v_mov_b32_e32 v36, v32
	s_waitcnt lgkmcnt(2)
	v_mov_b32_e32 v37, v34
	;; [unrolled: 2-line block ×4, first 2 shown]
	v_pk_fma_f32 v[14:15], v[36:37], v[50:51], v[14:15] op_sel_hi:[1,0,1]
	v_pk_fma_f32 v[12:13], v[42:43], v[50:51], v[12:13] op_sel_hi:[1,0,1] neg_lo:[1,0,0] neg_hi:[1,0,0]
	v_pk_fma_f32 v[14:15], v[42:43], v[54:55], v[14:15] op_sel_hi:[1,0,1] neg_lo:[1,0,0] neg_hi:[1,0,0]
	ds_read2_b32 v[42:43], v21 offset0:119 offset1:126
	v_pk_fma_f32 v[12:13], v[36:37], v[54:55], v[12:13] op_sel_hi:[1,0,1]
	ds_read2_b32 v[36:37], v20 offset0:119 offset1:126
	v_mov_b32_e32 v10, v11
	v_mov_b32_e32 v8, v9
	s_waitcnt lgkmcnt(1)
	v_mov_b32_e32 v11, v42
	v_pk_fma_f32 v[12:13], v[10:11], v[28:29], v[12:13] op_sel:[0,1,0]
	s_waitcnt lgkmcnt(0)
	v_mov_b32_e32 v9, v36
	v_pk_fma_f32 v[12:13], v[8:9], v[30:31], v[12:13] op_sel:[0,1,0]
	v_pk_fma_f32 v[8:9], v[8:9], v[28:29], v[14:15] op_sel:[0,1,0] neg_lo:[1,0,0] neg_hi:[1,0,0]
	v_mov_b32_e32 v34, v33
	v_pk_fma_f32 v[8:9], v[10:11], v[30:31], v[8:9] op_sel:[0,1,0]
	v_mov_b32_e32 v40, v39
	v_mov_b32_e32 v10, v51
	v_pk_fma_f32 v[12:13], v[40:41], v[10:11], v[12:13] op_sel_hi:[1,0,1] neg_lo:[1,0,0] neg_hi:[1,0,0]
	v_mov_b32_e32 v14, v55
	v_pk_fma_f32 v[8:9], v[34:35], v[10:11], v[8:9] op_sel_hi:[1,0,1]
	v_pk_fma_f32 v[12:13], v[34:35], v[14:15], v[12:13] op_sel_hi:[1,0,1]
	v_pk_fma_f32 v[8:9], v[40:41], v[14:15], v[8:9] op_sel_hi:[1,0,1] neg_lo:[1,0,0] neg_hi:[1,0,0]
	ds_read2_b32 v[10:11], v20 offset0:28 offset1:35
	ds_read2_b32 v[14:15], v21 offset0:28 offset1:35
	;; [unrolled: 1-line block ×10, first 2 shown]
	s_waitcnt lgkmcnt(9)
	v_mov_b32_e32 v36, v10
	s_waitcnt lgkmcnt(8)
	v_mov_b32_e32 v42, v14
	s_waitcnt lgkmcnt(7)
	v_pk_fma_f32 v[12:13], v[42:43], v[28:29], v[12:13] op_sel_hi:[1,0,1]
	v_pk_fma_f32 v[8:9], v[36:37], v[28:29], v[8:9] op_sel_hi:[1,0,1] neg_lo:[1,0,0] neg_hi:[1,0,0]
	s_waitcnt lgkmcnt(6)
	v_pk_fma_f32 v[12:13], v[36:37], v[30:31], v[12:13] op_sel_hi:[1,0,1]
	v_pk_fma_f32 v[8:9], v[42:43], v[30:31], v[8:9] op_sel_hi:[1,0,1]
	s_waitcnt lgkmcnt(5)
	v_mov_b32_e32 v36, v32
	s_waitcnt lgkmcnt(4)
	v_mov_b32_e32 v37, v34
	s_waitcnt lgkmcnt(3)
	v_mov_b32_e32 v42, v38
	s_waitcnt lgkmcnt(2)
	v_mov_b32_e32 v43, v40
	s_waitcnt lgkmcnt(1)
	v_pk_fma_f32 v[12:13], v[42:43], v[44:45], v[12:13] op_sel_hi:[1,0,1] neg_lo:[1,0,0] neg_hi:[1,0,0]
	v_pk_fma_f32 v[8:9], v[36:37], v[44:45], v[8:9] op_sel_hi:[1,0,1]
	s_waitcnt lgkmcnt(0)
	v_pk_fma_f32 v[12:13], v[36:37], v[46:47], v[12:13] op_sel_hi:[1,0,1]
	v_pk_fma_f32 v[8:9], v[42:43], v[46:47], v[8:9] op_sel_hi:[1,0,1] neg_lo:[1,0,0] neg_hi:[1,0,0]
	ds_read2_b32 v[36:37], v20 offset0:133 offset1:140
	ds_read2_b32 v[42:43], v21 offset0:133 offset1:140
	v_mov_b32_e32 v10, v11
	v_mov_b32_e32 v14, v15
	;; [unrolled: 1-line block ×3, first 2 shown]
	s_waitcnt lgkmcnt(1)
	v_mov_b32_e32 v11, v36
	s_waitcnt lgkmcnt(0)
	v_mov_b32_e32 v15, v42
	v_pk_fma_f32 v[12:13], v[14:15], v[28:29], v[12:13] op_sel:[0,1,0]
	v_pk_fma_f32 v[8:9], v[10:11], v[28:29], v[8:9] op_sel:[0,1,0] neg_lo:[1,0,0] neg_hi:[1,0,0]
	v_pk_fma_f32 v[12:13], v[10:11], v[30:31], v[12:13] op_sel:[0,1,0]
	v_pk_fma_f32 v[8:9], v[14:15], v[30:31], v[8:9] op_sel:[0,1,0]
	v_mov_b32_e32 v40, v39
	v_mov_b32_e32 v10, v45
	v_pk_fma_f32 v[12:13], v[40:41], v[10:11], v[12:13] op_sel_hi:[1,0,1] neg_lo:[1,0,0] neg_hi:[1,0,0]
	v_mov_b32_e32 v14, v47
	v_pk_fma_f32 v[8:9], v[34:35], v[10:11], v[8:9] op_sel_hi:[1,0,1]
	v_pk_fma_f32 v[12:13], v[34:35], v[14:15], v[12:13] op_sel_hi:[1,0,1]
	v_pk_fma_f32 v[10:11], v[40:41], v[14:15], v[8:9] op_sel_hi:[1,0,1] neg_lo:[1,0,0] neg_hi:[1,0,0]
	ds_read_b32 v14, v22 offset:24
	v_mov_b32_e32 v7, v43
	v_mov_b32_e32 v5, v37
	v_lshl_add_u64 v[2:3], v[2:3], 3, s[6:7]
	s_waitcnt lgkmcnt(0)
	v_pk_fma_f32 v[8:9], v[6:7], v[14:15], v[12:13] op_sel_hi:[1,0,1]
	ds_read_b32 v12, v23 offset:24
	s_waitcnt lgkmcnt(0)
	v_pk_fma_f32 v[8:9], v[4:5], v[12:13], v[8:9] op_sel_hi:[1,0,1]
	v_pk_fma_f32 v[4:5], v[4:5], v[14:15], v[10:11] op_sel_hi:[1,0,1] neg_lo:[1,0,0] neg_hi:[1,0,0]
	s_nop 0
	v_pk_fma_f32 v[4:5], v[6:7], v[12:13], v[4:5] op_sel_hi:[1,0,1]
	ds_read2_b32 v[6:7], v24 offset0:6 offset1:104
	ds_read2_b32 v[10:11], v25 offset0:6 offset1:104
	ds_read_b32 v12, v26 offset:168
	ds_read_b32 v14, v27 offset:168
	s_waitcnt lgkmcnt(1)
	v_pk_fma_f32 v[8:9], v[10:11], v[12:13], v[8:9] op_sel_hi:[1,0,1] neg_lo:[1,0,0] neg_hi:[1,0,0]
	v_pk_fma_f32 v[4:5], v[6:7], v[12:13], v[4:5] op_sel_hi:[1,0,1]
	s_waitcnt lgkmcnt(0)
	v_pk_fma_f32 v[8:9], v[6:7], v[14:15], v[8:9] op_sel_hi:[1,0,1]
	v_pk_fma_f32 v[4:5], v[10:11], v[14:15], v[4:5] op_sel_hi:[1,0,1] neg_lo:[1,0,0] neg_hi:[1,0,0]
	v_lshl_add_u64 v[6:7], v[0:1], 3, s[6:7]
	v_mov_b32_e32 v10, v8
	v_mov_b32_e32 v11, v4
	global_store_dwordx2 v[6:7], v[10:11], off
	v_mov_b32_e32 v6, v9
	v_mov_b32_e32 v7, v5
	global_store_dwordx2 v[2:3], v[6:7], off
	v_mov_b32_e32 v7, v4
	v_mov_b32_e32 v6, v8
	;; [unrolled: 1-line block ×3, first 2 shown]
	s_branch .LBB24_4
.LBB24_9:
	s_endpgm
	.section	.rodata,"a",@progbits
	.p2align	6, 0x0
	.amdhsa_kernel _Z16final_gpu_kernelPK15HIP_vector_typeIfLj2EEPS0_S2_i
		.amdhsa_group_segment_fixed_size 1972
		.amdhsa_private_segment_fixed_size 0
		.amdhsa_kernarg_size 28
		.amdhsa_user_sgpr_count 2
		.amdhsa_user_sgpr_dispatch_ptr 0
		.amdhsa_user_sgpr_queue_ptr 0
		.amdhsa_user_sgpr_kernarg_segment_ptr 1
		.amdhsa_user_sgpr_dispatch_id 0
		.amdhsa_user_sgpr_kernarg_preload_length 0
		.amdhsa_user_sgpr_kernarg_preload_offset 0
		.amdhsa_user_sgpr_private_segment_size 0
		.amdhsa_uses_dynamic_stack 0
		.amdhsa_enable_private_segment 0
		.amdhsa_system_sgpr_workgroup_id_x 1
		.amdhsa_system_sgpr_workgroup_id_y 0
		.amdhsa_system_sgpr_workgroup_id_z 0
		.amdhsa_system_sgpr_workgroup_info 0
		.amdhsa_system_vgpr_workitem_id 1
		.amdhsa_next_free_vgpr 56
		.amdhsa_next_free_sgpr 8
		.amdhsa_accum_offset 56
		.amdhsa_reserve_vcc 1
		.amdhsa_float_round_mode_32 0
		.amdhsa_float_round_mode_16_64 0
		.amdhsa_float_denorm_mode_32 3
		.amdhsa_float_denorm_mode_16_64 3
		.amdhsa_dx10_clamp 1
		.amdhsa_ieee_mode 1
		.amdhsa_fp16_overflow 0
		.amdhsa_tg_split 0
		.amdhsa_exception_fp_ieee_invalid_op 0
		.amdhsa_exception_fp_denorm_src 0
		.amdhsa_exception_fp_ieee_div_zero 0
		.amdhsa_exception_fp_ieee_overflow 0
		.amdhsa_exception_fp_ieee_underflow 0
		.amdhsa_exception_fp_ieee_inexact 0
		.amdhsa_exception_int_div_zero 0
	.end_amdhsa_kernel
	.text
.Lfunc_end24:
	.size	_Z16final_gpu_kernelPK15HIP_vector_typeIfLj2EEPS0_S2_i, .Lfunc_end24-_Z16final_gpu_kernelPK15HIP_vector_typeIfLj2EEPS0_S2_i
                                        ; -- End function
	.set _Z16final_gpu_kernelPK15HIP_vector_typeIfLj2EEPS0_S2_i.num_vgpr, 56
	.set _Z16final_gpu_kernelPK15HIP_vector_typeIfLj2EEPS0_S2_i.num_agpr, 0
	.set _Z16final_gpu_kernelPK15HIP_vector_typeIfLj2EEPS0_S2_i.numbered_sgpr, 8
	.set _Z16final_gpu_kernelPK15HIP_vector_typeIfLj2EEPS0_S2_i.num_named_barrier, 0
	.set _Z16final_gpu_kernelPK15HIP_vector_typeIfLj2EEPS0_S2_i.private_seg_size, 0
	.set _Z16final_gpu_kernelPK15HIP_vector_typeIfLj2EEPS0_S2_i.uses_vcc, 1
	.set _Z16final_gpu_kernelPK15HIP_vector_typeIfLj2EEPS0_S2_i.uses_flat_scratch, 0
	.set _Z16final_gpu_kernelPK15HIP_vector_typeIfLj2EEPS0_S2_i.has_dyn_sized_stack, 0
	.set _Z16final_gpu_kernelPK15HIP_vector_typeIfLj2EEPS0_S2_i.has_recursion, 0
	.set _Z16final_gpu_kernelPK15HIP_vector_typeIfLj2EEPS0_S2_i.has_indirect_call, 0
	.section	.AMDGPU.csdata,"",@progbits
; Kernel info:
; codeLenInByte = 1740
; TotalNumSgprs: 14
; NumVgprs: 56
; NumAgprs: 0
; TotalNumVgprs: 56
; ScratchSize: 0
; MemoryBound: 0
; FloatMode: 240
; IeeeMode: 1
; LDSByteSize: 1972 bytes/workgroup (compile time only)
; SGPRBlocks: 1
; VGPRBlocks: 6
; NumSGPRsForWavesPerEU: 14
; NumVGPRsForWavesPerEU: 56
; AccumOffset: 56
; Occupancy: 8
; WaveLimiterHint : 0
; COMPUTE_PGM_RSRC2:SCRATCH_EN: 0
; COMPUTE_PGM_RSRC2:USER_SGPR: 2
; COMPUTE_PGM_RSRC2:TRAP_HANDLER: 0
; COMPUTE_PGM_RSRC2:TGID_X_EN: 1
; COMPUTE_PGM_RSRC2:TGID_Y_EN: 0
; COMPUTE_PGM_RSRC2:TGID_Z_EN: 0
; COMPUTE_PGM_RSRC2:TIDIG_COMP_CNT: 1
; COMPUTE_PGM_RSRC3_GFX90A:ACCUM_OFFSET: 13
; COMPUTE_PGM_RSRC3_GFX90A:TG_SPLIT: 0
	.text
	.p2alignl 6, 3212836864
	.fill 256, 4, 3212836864
	.section	.AMDGPU.gpr_maximums,"",@progbits
	.set amdgpu.max_num_vgpr, 0
	.set amdgpu.max_num_agpr, 0
	.set amdgpu.max_num_sgpr, 0
	.text
	.type	__hip_cuid_8854dbc7971861fd,@object ; @__hip_cuid_8854dbc7971861fd
	.section	.bss,"aw",@nobits
	.globl	__hip_cuid_8854dbc7971861fd
__hip_cuid_8854dbc7971861fd:
	.byte	0                               ; 0x0
	.size	__hip_cuid_8854dbc7971861fd, 1

	.ident	"AMD clang version 22.0.0git (https://github.com/RadeonOpenCompute/llvm-project roc-7.2.4 26084 f58b06dce1f9c15707c5f808fd002e18c2accf7e)"
	.section	".note.GNU-stack","",@progbits
	.addrsig
	.addrsig_sym __hip_cuid_8854dbc7971861fd
	.amdgpu_metadata
---
amdhsa.kernels:
  - .agpr_count:     0
    .args:
      - .actual_access:  read_only
        .address_space:  global
        .offset:         0
        .size:           8
        .value_kind:     global_buffer
      - .actual_access:  read_only
        .address_space:  global
        .offset:         8
        .size:           8
        .value_kind:     global_buffer
      - .actual_access:  read_only
        .address_space:  global
        .offset:         16
        .size:           8
        .value_kind:     global_buffer
    .group_segment_fixed_size: 0
    .kernarg_segment_align: 8
    .kernarg_segment_size: 24
    .language:       OpenCL C
    .language_version:
      - 2
      - 0
    .max_flat_workgroup_size: 1024
    .name:           _Z10comm_emptyP15HIP_vector_typeIfLj2EES1_S1_
    .private_segment_fixed_size: 0
    .sgpr_count:     6
    .sgpr_spill_count: 0
    .symbol:         _Z10comm_emptyP15HIP_vector_typeIfLj2EES1_S1_.kd
    .uniform_work_group_size: 1
    .uses_dynamic_stack: false
    .vgpr_count:     0
    .vgpr_spill_count: 0
    .wavefront_size: 64
  - .agpr_count:     0
    .args:
      - .actual_access:  read_only
        .address_space:  global
        .offset:         0
        .size:           8
        .value_kind:     global_buffer
      - .address_space:  global
        .offset:         8
        .size:           8
        .value_kind:     global_buffer
      - .actual_access:  read_only
        .address_space:  global
        .offset:         16
        .size:           8
        .value_kind:     global_buffer
      - .offset:         24
        .size:           4
        .value_kind:     by_value
      - .offset:         32
        .size:           4
        .value_kind:     hidden_block_count_x
      - .offset:         36
        .size:           4
        .value_kind:     hidden_block_count_y
      - .offset:         40
        .size:           4
        .value_kind:     hidden_block_count_z
      - .offset:         44
        .size:           2
        .value_kind:     hidden_group_size_x
      - .offset:         46
        .size:           2
        .value_kind:     hidden_group_size_y
      - .offset:         48
        .size:           2
        .value_kind:     hidden_group_size_z
      - .offset:         50
        .size:           2
        .value_kind:     hidden_remainder_x
      - .offset:         52
        .size:           2
        .value_kind:     hidden_remainder_y
      - .offset:         54
        .size:           2
        .value_kind:     hidden_remainder_z
      - .offset:         72
        .size:           8
        .value_kind:     hidden_global_offset_x
      - .offset:         80
        .size:           8
        .value_kind:     hidden_global_offset_y
      - .offset:         88
        .size:           8
        .value_kind:     hidden_global_offset_z
      - .offset:         96
        .size:           2
        .value_kind:     hidden_grid_dims
    .group_segment_fixed_size: 0
    .kernarg_segment_align: 8
    .kernarg_segment_size: 288
    .language:       OpenCL C
    .language_version:
      - 2
      - 0
    .max_flat_workgroup_size: 1024
    .name:           _Z9comm_initPK15HIP_vector_typeIfLj2EEPS0_S2_i
    .private_segment_fixed_size: 0
    .sgpr_count:     30
    .sgpr_spill_count: 0
    .symbol:         _Z9comm_initPK15HIP_vector_typeIfLj2EEPS0_S2_i.kd
    .uniform_work_group_size: 1
    .uses_dynamic_stack: false
    .vgpr_count:     20
    .vgpr_spill_count: 0
    .wavefront_size: 64
  - .agpr_count:     0
    .args:
      - .actual_access:  read_only
        .address_space:  global
        .offset:         0
        .size:           8
        .value_kind:     global_buffer
      - .address_space:  global
        .offset:         8
        .size:           8
        .value_kind:     global_buffer
      - .actual_access:  read_only
        .address_space:  global
        .offset:         16
        .size:           8
        .value_kind:     global_buffer
      - .offset:         24
        .size:           4
        .value_kind:     by_value
      - .offset:         32
        .size:           4
        .value_kind:     hidden_block_count_x
      - .offset:         36
        .size:           4
        .value_kind:     hidden_block_count_y
      - .offset:         40
        .size:           4
        .value_kind:     hidden_block_count_z
      - .offset:         44
        .size:           2
        .value_kind:     hidden_group_size_x
      - .offset:         46
        .size:           2
        .value_kind:     hidden_group_size_y
      - .offset:         48
        .size:           2
        .value_kind:     hidden_group_size_z
      - .offset:         50
        .size:           2
        .value_kind:     hidden_remainder_x
      - .offset:         52
        .size:           2
        .value_kind:     hidden_remainder_y
      - .offset:         54
        .size:           2
        .value_kind:     hidden_remainder_z
      - .offset:         72
        .size:           8
        .value_kind:     hidden_global_offset_x
      - .offset:         80
        .size:           8
        .value_kind:     hidden_global_offset_y
      - .offset:         88
        .size:           8
        .value_kind:     hidden_global_offset_z
      - .offset:         96
        .size:           2
        .value_kind:     hidden_grid_dims
    .group_segment_fixed_size: 0
    .kernarg_segment_align: 8
    .kernarg_segment_size: 288
    .language:       OpenCL C
    .language_version:
      - 2
      - 0
    .max_flat_workgroup_size: 1024
    .name:           _Z13comm_refactorPK15HIP_vector_typeIfLj2EEPS0_S2_i
    .private_segment_fixed_size: 0
    .sgpr_count:     48
    .sgpr_spill_count: 0
    .symbol:         _Z13comm_refactorPK15HIP_vector_typeIfLj2EEPS0_S2_i.kd
    .uniform_work_group_size: 1
    .uses_dynamic_stack: false
    .vgpr_count:     22
    .vgpr_spill_count: 0
    .wavefront_size: 64
  - .agpr_count:     0
    .args:
      - .actual_access:  read_only
        .address_space:  global
        .offset:         0
        .size:           8
        .value_kind:     global_buffer
      - .address_space:  global
        .offset:         8
        .size:           8
        .value_kind:     global_buffer
      - .actual_access:  read_only
        .address_space:  global
        .offset:         16
        .size:           8
        .value_kind:     global_buffer
      - .offset:         24
        .size:           4
        .value_kind:     by_value
      - .offset:         32
        .size:           4
        .value_kind:     hidden_block_count_x
      - .offset:         36
        .size:           4
        .value_kind:     hidden_block_count_y
      - .offset:         40
        .size:           4
        .value_kind:     hidden_block_count_z
      - .offset:         44
        .size:           2
        .value_kind:     hidden_group_size_x
      - .offset:         46
        .size:           2
        .value_kind:     hidden_group_size_y
      - .offset:         48
        .size:           2
        .value_kind:     hidden_group_size_z
      - .offset:         50
        .size:           2
        .value_kind:     hidden_remainder_x
      - .offset:         52
        .size:           2
        .value_kind:     hidden_remainder_y
      - .offset:         54
        .size:           2
        .value_kind:     hidden_remainder_z
      - .offset:         72
        .size:           8
        .value_kind:     hidden_global_offset_x
      - .offset:         80
        .size:           8
        .value_kind:     hidden_global_offset_y
      - .offset:         88
        .size:           8
        .value_kind:     hidden_global_offset_z
      - .offset:         96
        .size:           2
        .value_kind:     hidden_grid_dims
    .group_segment_fixed_size: 0
    .kernarg_segment_align: 8
    .kernarg_segment_size: 288
    .language:       OpenCL C
    .language_version:
      - 2
      - 0
    .max_flat_workgroup_size: 1024
    .name:           _Z26comm_refactor_direct_storePK15HIP_vector_typeIfLj2EEPS0_S2_i
    .private_segment_fixed_size: 0
    .sgpr_count:     48
    .sgpr_spill_count: 0
    .symbol:         _Z26comm_refactor_direct_storePK15HIP_vector_typeIfLj2EEPS0_S2_i.kd
    .uniform_work_group_size: 1
    .uses_dynamic_stack: false
    .vgpr_count:     22
    .vgpr_spill_count: 0
    .wavefront_size: 64
  - .agpr_count:     0
    .args:
      - .actual_access:  read_only
        .address_space:  global
        .offset:         0
        .size:           8
        .value_kind:     global_buffer
      - .address_space:  global
        .offset:         8
        .size:           8
        .value_kind:     global_buffer
      - .actual_access:  read_only
        .address_space:  global
        .offset:         16
        .size:           8
        .value_kind:     global_buffer
      - .offset:         24
        .size:           4
        .value_kind:     by_value
      - .offset:         32
        .size:           4
        .value_kind:     hidden_block_count_x
      - .offset:         36
        .size:           4
        .value_kind:     hidden_block_count_y
      - .offset:         40
        .size:           4
        .value_kind:     hidden_block_count_z
      - .offset:         44
        .size:           2
        .value_kind:     hidden_group_size_x
      - .offset:         46
        .size:           2
        .value_kind:     hidden_group_size_y
      - .offset:         48
        .size:           2
        .value_kind:     hidden_group_size_z
      - .offset:         50
        .size:           2
        .value_kind:     hidden_remainder_x
      - .offset:         52
        .size:           2
        .value_kind:     hidden_remainder_y
      - .offset:         54
        .size:           2
        .value_kind:     hidden_remainder_z
      - .offset:         72
        .size:           8
        .value_kind:     hidden_global_offset_x
      - .offset:         80
        .size:           8
        .value_kind:     hidden_global_offset_y
      - .offset:         88
        .size:           8
        .value_kind:     hidden_global_offset_z
      - .offset:         96
        .size:           2
        .value_kind:     hidden_grid_dims
    .group_segment_fixed_size: 0
    .kernarg_segment_align: 8
    .kernarg_segment_size: 288
    .language:       OpenCL C
    .language_version:
      - 2
      - 0
    .max_flat_workgroup_size: 1024
    .name:           _Z16comm_aosoa_naivePK15HIP_vector_typeIfLj2EEPS0_S2_i
    .private_segment_fixed_size: 0
    .sgpr_count:     44
    .sgpr_spill_count: 0
    .symbol:         _Z16comm_aosoa_naivePK15HIP_vector_typeIfLj2EEPS0_S2_i.kd
    .uniform_work_group_size: 1
    .uses_dynamic_stack: false
    .vgpr_count:     22
    .vgpr_spill_count: 0
    .wavefront_size: 64
  - .agpr_count:     0
    .args:
      - .actual_access:  read_only
        .address_space:  global
        .offset:         0
        .size:           8
        .value_kind:     global_buffer
      - .address_space:  global
        .offset:         8
        .size:           8
        .value_kind:     global_buffer
      - .actual_access:  read_only
        .address_space:  global
        .offset:         16
        .size:           8
        .value_kind:     global_buffer
      - .offset:         24
        .size:           4
        .value_kind:     by_value
      - .offset:         32
        .size:           4
        .value_kind:     hidden_block_count_x
      - .offset:         36
        .size:           4
        .value_kind:     hidden_block_count_y
      - .offset:         40
        .size:           4
        .value_kind:     hidden_block_count_z
      - .offset:         44
        .size:           2
        .value_kind:     hidden_group_size_x
      - .offset:         46
        .size:           2
        .value_kind:     hidden_group_size_y
      - .offset:         48
        .size:           2
        .value_kind:     hidden_group_size_z
      - .offset:         50
        .size:           2
        .value_kind:     hidden_remainder_x
      - .offset:         52
        .size:           2
        .value_kind:     hidden_remainder_y
      - .offset:         54
        .size:           2
        .value_kind:     hidden_remainder_z
      - .offset:         72
        .size:           8
        .value_kind:     hidden_global_offset_x
      - .offset:         80
        .size:           8
        .value_kind:     hidden_global_offset_y
      - .offset:         88
        .size:           8
        .value_kind:     hidden_global_offset_z
      - .offset:         96
        .size:           2
        .value_kind:     hidden_grid_dims
    .group_segment_fixed_size: 0
    .kernarg_segment_align: 8
    .kernarg_segment_size: 288
    .language:       OpenCL C
    .language_version:
      - 2
      - 0
    .max_flat_workgroup_size: 1024
    .name:           _Z26comm_aosoa_naive_constantsPK15HIP_vector_typeIfLj2EEPS0_S2_i
    .private_segment_fixed_size: 0
    .sgpr_count:     49
    .sgpr_spill_count: 0
    .symbol:         _Z26comm_aosoa_naive_constantsPK15HIP_vector_typeIfLj2EEPS0_S2_i.kd
    .uniform_work_group_size: 1
    .uses_dynamic_stack: false
    .vgpr_count:     60
    .vgpr_spill_count: 0
    .wavefront_size: 64
  - .agpr_count:     0
    .args:
      - .actual_access:  read_only
        .address_space:  global
        .offset:         0
        .size:           8
        .value_kind:     global_buffer
      - .address_space:  global
        .offset:         8
        .size:           8
        .value_kind:     global_buffer
      - .actual_access:  read_only
        .address_space:  global
        .offset:         16
        .size:           8
        .value_kind:     global_buffer
      - .offset:         24
        .size:           4
        .value_kind:     hidden_block_count_x
      - .offset:         28
        .size:           4
        .value_kind:     hidden_block_count_y
      - .offset:         32
        .size:           4
        .value_kind:     hidden_block_count_z
      - .offset:         36
        .size:           2
        .value_kind:     hidden_group_size_x
      - .offset:         38
        .size:           2
        .value_kind:     hidden_group_size_y
      - .offset:         40
        .size:           2
        .value_kind:     hidden_group_size_z
      - .offset:         42
        .size:           2
        .value_kind:     hidden_remainder_x
      - .offset:         44
        .size:           2
        .value_kind:     hidden_remainder_y
      - .offset:         46
        .size:           2
        .value_kind:     hidden_remainder_z
      - .offset:         64
        .size:           8
        .value_kind:     hidden_global_offset_x
      - .offset:         72
        .size:           8
        .value_kind:     hidden_global_offset_y
      - .offset:         80
        .size:           8
        .value_kind:     hidden_global_offset_z
      - .offset:         88
        .size:           2
        .value_kind:     hidden_grid_dims
    .group_segment_fixed_size: 0
    .kernarg_segment_align: 8
    .kernarg_segment_size: 280
    .language:       OpenCL C
    .language_version:
      - 2
      - 0
    .max_flat_workgroup_size: 1024
    .name:           _Z31comm_aosoa_naive_constants_permPK15HIP_vector_typeIfLj2EEPS0_S2_
    .private_segment_fixed_size: 0
    .sgpr_count:     34
    .sgpr_spill_count: 0
    .symbol:         _Z31comm_aosoa_naive_constants_permPK15HIP_vector_typeIfLj2EEPS0_S2_.kd
    .uniform_work_group_size: 1
    .uses_dynamic_stack: false
    .vgpr_count:     64
    .vgpr_spill_count: 0
    .wavefront_size: 64
  - .agpr_count:     0
    .args:
      - .actual_access:  read_only
        .address_space:  global
        .offset:         0
        .size:           8
        .value_kind:     global_buffer
      - .address_space:  global
        .offset:         8
        .size:           8
        .value_kind:     global_buffer
      - .actual_access:  read_only
        .address_space:  global
        .offset:         16
        .size:           8
        .value_kind:     global_buffer
      - .offset:         24
        .size:           4
        .value_kind:     by_value
      - .offset:         32
        .size:           4
        .value_kind:     hidden_block_count_x
      - .offset:         36
        .size:           4
        .value_kind:     hidden_block_count_y
      - .offset:         40
        .size:           4
        .value_kind:     hidden_block_count_z
      - .offset:         44
        .size:           2
        .value_kind:     hidden_group_size_x
      - .offset:         46
        .size:           2
        .value_kind:     hidden_group_size_y
      - .offset:         48
        .size:           2
        .value_kind:     hidden_group_size_z
      - .offset:         50
        .size:           2
        .value_kind:     hidden_remainder_x
      - .offset:         52
        .size:           2
        .value_kind:     hidden_remainder_y
      - .offset:         54
        .size:           2
        .value_kind:     hidden_remainder_z
      - .offset:         72
        .size:           8
        .value_kind:     hidden_global_offset_x
      - .offset:         80
        .size:           8
        .value_kind:     hidden_global_offset_y
      - .offset:         88
        .size:           8
        .value_kind:     hidden_global_offset_z
      - .offset:         96
        .size:           2
        .value_kind:     hidden_grid_dims
    .group_segment_fixed_size: 0
    .kernarg_segment_align: 8
    .kernarg_segment_size: 288
    .language:       OpenCL C
    .language_version:
      - 2
      - 0
    .max_flat_workgroup_size: 1024
    .name:           _Z23comm_aosoa_naive_directPK15HIP_vector_typeIfLj2EEPS0_S2_i
    .private_segment_fixed_size: 0
    .sgpr_count:     44
    .sgpr_spill_count: 0
    .symbol:         _Z23comm_aosoa_naive_directPK15HIP_vector_typeIfLj2EEPS0_S2_i.kd
    .uniform_work_group_size: 1
    .uses_dynamic_stack: false
    .vgpr_count:     26
    .vgpr_spill_count: 0
    .wavefront_size: 64
  - .agpr_count:     0
    .args:
      - .actual_access:  read_only
        .address_space:  global
        .offset:         0
        .size:           8
        .value_kind:     global_buffer
      - .address_space:  global
        .offset:         8
        .size:           8
        .value_kind:     global_buffer
      - .actual_access:  read_only
        .address_space:  global
        .offset:         16
        .size:           8
        .value_kind:     global_buffer
      - .offset:         24
        .size:           4
        .value_kind:     hidden_block_count_x
      - .offset:         28
        .size:           4
        .value_kind:     hidden_block_count_y
      - .offset:         32
        .size:           4
        .value_kind:     hidden_block_count_z
      - .offset:         36
        .size:           2
        .value_kind:     hidden_group_size_x
      - .offset:         38
        .size:           2
        .value_kind:     hidden_group_size_y
      - .offset:         40
        .size:           2
        .value_kind:     hidden_group_size_z
      - .offset:         42
        .size:           2
        .value_kind:     hidden_remainder_x
      - .offset:         44
        .size:           2
        .value_kind:     hidden_remainder_y
      - .offset:         46
        .size:           2
        .value_kind:     hidden_remainder_z
      - .offset:         64
        .size:           8
        .value_kind:     hidden_global_offset_x
      - .offset:         72
        .size:           8
        .value_kind:     hidden_global_offset_y
      - .offset:         80
        .size:           8
        .value_kind:     hidden_global_offset_z
      - .offset:         88
        .size:           2
        .value_kind:     hidden_grid_dims
    .group_segment_fixed_size: 0
    .kernarg_segment_align: 8
    .kernarg_segment_size: 280
    .language:       OpenCL C
    .language_version:
      - 2
      - 0
    .max_flat_workgroup_size: 1024
    .name:           _Z33comm_aosoa_naive_constants_directPK15HIP_vector_typeIfLj2EEPS0_S2_
    .private_segment_fixed_size: 0
    .sgpr_count:     49
    .sgpr_spill_count: 0
    .symbol:         _Z33comm_aosoa_naive_constants_directPK15HIP_vector_typeIfLj2EEPS0_S2_.kd
    .uniform_work_group_size: 1
    .uses_dynamic_stack: false
    .vgpr_count:     61
    .vgpr_spill_count: 0
    .wavefront_size: 64
  - .agpr_count:     0
    .args:
      - .actual_access:  read_only
        .address_space:  global
        .offset:         0
        .size:           8
        .value_kind:     global_buffer
      - .address_space:  global
        .offset:         8
        .size:           8
        .value_kind:     global_buffer
      - .actual_access:  read_only
        .address_space:  global
        .offset:         16
        .size:           8
        .value_kind:     global_buffer
      - .offset:         24
        .size:           4
        .value_kind:     hidden_block_count_x
      - .offset:         28
        .size:           4
        .value_kind:     hidden_block_count_y
      - .offset:         32
        .size:           4
        .value_kind:     hidden_block_count_z
      - .offset:         36
        .size:           2
        .value_kind:     hidden_group_size_x
      - .offset:         38
        .size:           2
        .value_kind:     hidden_group_size_y
      - .offset:         40
        .size:           2
        .value_kind:     hidden_group_size_z
      - .offset:         42
        .size:           2
        .value_kind:     hidden_remainder_x
      - .offset:         44
        .size:           2
        .value_kind:     hidden_remainder_y
      - .offset:         46
        .size:           2
        .value_kind:     hidden_remainder_z
      - .offset:         64
        .size:           8
        .value_kind:     hidden_global_offset_x
      - .offset:         72
        .size:           8
        .value_kind:     hidden_global_offset_y
      - .offset:         80
        .size:           8
        .value_kind:     hidden_global_offset_z
      - .offset:         88
        .size:           2
        .value_kind:     hidden_grid_dims
    .group_segment_fixed_size: 0
    .kernarg_segment_align: 8
    .kernarg_segment_size: 280
    .language:       OpenCL C
    .language_version:
      - 2
      - 0
    .max_flat_workgroup_size: 1024
    .name:           _Z38comm_aosoa_naive_constants_direct_permPK15HIP_vector_typeIfLj2EEPS0_S2_
    .private_segment_fixed_size: 0
    .sgpr_count:     34
    .sgpr_spill_count: 0
    .symbol:         _Z38comm_aosoa_naive_constants_direct_permPK15HIP_vector_typeIfLj2EEPS0_S2_.kd
    .uniform_work_group_size: 1
    .uses_dynamic_stack: false
    .vgpr_count:     64
    .vgpr_spill_count: 0
    .wavefront_size: 64
  - .agpr_count:     0
    .args:
      - .actual_access:  read_only
        .address_space:  global
        .offset:         0
        .size:           8
        .value_kind:     global_buffer
      - .address_space:  global
        .offset:         8
        .size:           8
        .value_kind:     global_buffer
      - .actual_access:  read_only
        .address_space:  global
        .offset:         16
        .size:           8
        .value_kind:     global_buffer
      - .offset:         24
        .size:           4
        .value_kind:     by_value
    .group_segment_fixed_size: 0
    .kernarg_segment_align: 8
    .kernarg_segment_size: 28
    .language:       OpenCL C
    .language_version:
      - 2
      - 0
    .max_flat_workgroup_size: 1024
    .name:           _Z10comm_aosoaPK15HIP_vector_typeIfLj2EEPS0_S2_i
    .private_segment_fixed_size: 0
    .sgpr_count:     44
    .sgpr_spill_count: 0
    .symbol:         _Z10comm_aosoaPK15HIP_vector_typeIfLj2EEPS0_S2_i.kd
    .uniform_work_group_size: 1
    .uses_dynamic_stack: false
    .vgpr_count:     22
    .vgpr_spill_count: 0
    .wavefront_size: 64
  - .agpr_count:     0
    .args:
      - .actual_access:  read_only
        .address_space:  global
        .offset:         0
        .size:           8
        .value_kind:     global_buffer
      - .address_space:  global
        .offset:         8
        .size:           8
        .value_kind:     global_buffer
      - .actual_access:  read_only
        .address_space:  global
        .offset:         16
        .size:           8
        .value_kind:     global_buffer
    .group_segment_fixed_size: 0
    .kernarg_segment_align: 8
    .kernarg_segment_size: 24
    .language:       OpenCL C
    .language_version:
      - 2
      - 0
    .max_flat_workgroup_size: 1024
    .name:           _Z20comm_aosoa_constantsPK15HIP_vector_typeIfLj2EEPS0_S2_
    .private_segment_fixed_size: 0
    .sgpr_count:     49
    .sgpr_spill_count: 0
    .symbol:         _Z20comm_aosoa_constantsPK15HIP_vector_typeIfLj2EEPS0_S2_.kd
    .uniform_work_group_size: 1
    .uses_dynamic_stack: false
    .vgpr_count:     55
    .vgpr_spill_count: 0
    .wavefront_size: 64
  - .agpr_count:     0
    .args:
      - .actual_access:  read_only
        .address_space:  global
        .offset:         0
        .size:           8
        .value_kind:     global_buffer
      - .address_space:  global
        .offset:         8
        .size:           8
        .value_kind:     global_buffer
      - .actual_access:  read_only
        .address_space:  global
        .offset:         16
        .size:           8
        .value_kind:     global_buffer
    .group_segment_fixed_size: 0
    .kernarg_segment_align: 8
    .kernarg_segment_size: 24
    .language:       OpenCL C
    .language_version:
      - 2
      - 0
    .max_flat_workgroup_size: 1024
    .name:           _Z25comm_aosoa_constants_permPK15HIP_vector_typeIfLj2EEPS0_S2_
    .private_segment_fixed_size: 0
    .sgpr_count:     34
    .sgpr_spill_count: 0
    .symbol:         _Z25comm_aosoa_constants_permPK15HIP_vector_typeIfLj2EEPS0_S2_.kd
    .uniform_work_group_size: 1
    .uses_dynamic_stack: false
    .vgpr_count:     64
    .vgpr_spill_count: 0
    .wavefront_size: 64
  - .agpr_count:     0
    .args:
      - .actual_access:  read_only
        .address_space:  global
        .offset:         0
        .size:           8
        .value_kind:     global_buffer
      - .address_space:  global
        .offset:         8
        .size:           8
        .value_kind:     global_buffer
      - .actual_access:  read_only
        .address_space:  global
        .offset:         16
        .size:           8
        .value_kind:     global_buffer
      - .offset:         24
        .size:           4
        .value_kind:     by_value
    .group_segment_fixed_size: 0
    .kernarg_segment_align: 8
    .kernarg_segment_size: 28
    .language:       OpenCL C
    .language_version:
      - 2
      - 0
    .max_flat_workgroup_size: 1024
    .name:           _Z17comm_aosoa_directPK15HIP_vector_typeIfLj2EEPS0_S2_i
    .private_segment_fixed_size: 0
    .sgpr_count:     44
    .sgpr_spill_count: 0
    .symbol:         _Z17comm_aosoa_directPK15HIP_vector_typeIfLj2EEPS0_S2_i.kd
    .uniform_work_group_size: 1
    .uses_dynamic_stack: false
    .vgpr_count:     26
    .vgpr_spill_count: 0
    .wavefront_size: 64
  - .agpr_count:     0
    .args:
      - .actual_access:  read_only
        .address_space:  global
        .offset:         0
        .size:           8
        .value_kind:     global_buffer
      - .address_space:  global
        .offset:         8
        .size:           8
        .value_kind:     global_buffer
      - .actual_access:  read_only
        .address_space:  global
        .offset:         16
        .size:           8
        .value_kind:     global_buffer
    .group_segment_fixed_size: 0
    .kernarg_segment_align: 8
    .kernarg_segment_size: 24
    .language:       OpenCL C
    .language_version:
      - 2
      - 0
    .max_flat_workgroup_size: 1024
    .name:           _Z27comm_aosoa_constants_directPK15HIP_vector_typeIfLj2EEPS0_S2_
    .private_segment_fixed_size: 0
    .sgpr_count:     49
    .sgpr_spill_count: 0
    .symbol:         _Z27comm_aosoa_constants_directPK15HIP_vector_typeIfLj2EEPS0_S2_.kd
    .uniform_work_group_size: 1
    .uses_dynamic_stack: false
    .vgpr_count:     63
    .vgpr_spill_count: 0
    .wavefront_size: 64
  - .agpr_count:     0
    .args:
      - .actual_access:  read_only
        .address_space:  global
        .offset:         0
        .size:           8
        .value_kind:     global_buffer
      - .address_space:  global
        .offset:         8
        .size:           8
        .value_kind:     global_buffer
      - .actual_access:  read_only
        .address_space:  global
        .offset:         16
        .size:           8
        .value_kind:     global_buffer
    .group_segment_fixed_size: 0
    .kernarg_segment_align: 8
    .kernarg_segment_size: 24
    .language:       OpenCL C
    .language_version:
      - 2
      - 0
    .max_flat_workgroup_size: 1024
    .name:           _Z32comm_aosoa_constants_direct_permPK15HIP_vector_typeIfLj2EEPS0_S2_
    .private_segment_fixed_size: 0
    .sgpr_count:     34
    .sgpr_spill_count: 0
    .symbol:         _Z32comm_aosoa_constants_direct_permPK15HIP_vector_typeIfLj2EEPS0_S2_.kd
    .uniform_work_group_size: 1
    .uses_dynamic_stack: false
    .vgpr_count:     64
    .vgpr_spill_count: 0
    .wavefront_size: 64
  - .agpr_count:     0
    .args:
      - .actual_access:  read_only
        .address_space:  global
        .offset:         0
        .size:           8
        .value_kind:     global_buffer
      - .address_space:  global
        .offset:         8
        .size:           8
        .value_kind:     global_buffer
      - .actual_access:  read_only
        .address_space:  global
        .offset:         16
        .size:           8
        .value_kind:     global_buffer
      - .offset:         24
        .size:           4
        .value_kind:     by_value
      - .offset:         32
        .size:           4
        .value_kind:     hidden_block_count_x
      - .offset:         36
        .size:           4
        .value_kind:     hidden_block_count_y
      - .offset:         40
        .size:           4
        .value_kind:     hidden_block_count_z
      - .offset:         44
        .size:           2
        .value_kind:     hidden_group_size_x
      - .offset:         46
        .size:           2
        .value_kind:     hidden_group_size_y
      - .offset:         48
        .size:           2
        .value_kind:     hidden_group_size_z
      - .offset:         50
        .size:           2
        .value_kind:     hidden_remainder_x
      - .offset:         52
        .size:           2
        .value_kind:     hidden_remainder_y
      - .offset:         54
        .size:           2
        .value_kind:     hidden_remainder_z
      - .offset:         72
        .size:           8
        .value_kind:     hidden_global_offset_x
      - .offset:         80
        .size:           8
        .value_kind:     hidden_global_offset_y
      - .offset:         88
        .size:           8
        .value_kind:     hidden_global_offset_z
      - .offset:         96
        .size:           2
        .value_kind:     hidden_grid_dims
    .group_segment_fixed_size: 0
    .kernarg_segment_align: 8
    .kernarg_segment_size: 288
    .language:       OpenCL C
    .language_version:
      - 2
      - 0
    .max_flat_workgroup_size: 1024
    .name:           _Z17comm_manual_aosoaPK15HIP_vector_typeIfLj2EEPS0_S2_i
    .private_segment_fixed_size: 0
    .sgpr_count:     38
    .sgpr_spill_count: 0
    .symbol:         _Z17comm_manual_aosoaPK15HIP_vector_typeIfLj2EEPS0_S2_i.kd
    .uniform_work_group_size: 1
    .uses_dynamic_stack: false
    .vgpr_count:     40
    .vgpr_spill_count: 0
    .wavefront_size: 64
  - .agpr_count:     0
    .args:
      - .actual_access:  read_only
        .address_space:  global
        .offset:         0
        .size:           8
        .value_kind:     global_buffer
      - .address_space:  global
        .offset:         8
        .size:           8
        .value_kind:     global_buffer
      - .actual_access:  read_only
        .address_space:  global
        .offset:         16
        .size:           8
        .value_kind:     global_buffer
      - .offset:         24
        .size:           4
        .value_kind:     hidden_block_count_x
      - .offset:         28
        .size:           4
        .value_kind:     hidden_block_count_y
      - .offset:         32
        .size:           4
        .value_kind:     hidden_block_count_z
      - .offset:         36
        .size:           2
        .value_kind:     hidden_group_size_x
      - .offset:         38
        .size:           2
        .value_kind:     hidden_group_size_y
      - .offset:         40
        .size:           2
        .value_kind:     hidden_group_size_z
      - .offset:         42
        .size:           2
        .value_kind:     hidden_remainder_x
      - .offset:         44
        .size:           2
        .value_kind:     hidden_remainder_y
      - .offset:         46
        .size:           2
        .value_kind:     hidden_remainder_z
      - .offset:         64
        .size:           8
        .value_kind:     hidden_global_offset_x
      - .offset:         72
        .size:           8
        .value_kind:     hidden_global_offset_y
      - .offset:         80
        .size:           8
        .value_kind:     hidden_global_offset_z
      - .offset:         88
        .size:           2
        .value_kind:     hidden_grid_dims
    .group_segment_fixed_size: 0
    .kernarg_segment_align: 8
    .kernarg_segment_size: 280
    .language:       OpenCL C
    .language_version:
      - 2
      - 0
    .max_flat_workgroup_size: 1024
    .name:           _Z27comm_manual_aosoa_constantsPK15HIP_vector_typeIfLj2EEPS0_S2_
    .private_segment_fixed_size: 0
    .sgpr_count:     82
    .sgpr_spill_count: 0
    .symbol:         _Z27comm_manual_aosoa_constantsPK15HIP_vector_typeIfLj2EEPS0_S2_.kd
    .uniform_work_group_size: 1
    .uses_dynamic_stack: false
    .vgpr_count:     86
    .vgpr_spill_count: 0
    .wavefront_size: 64
  - .agpr_count:     0
    .args:
      - .actual_access:  read_only
        .address_space:  global
        .offset:         0
        .size:           8
        .value_kind:     global_buffer
      - .address_space:  global
        .offset:         8
        .size:           8
        .value_kind:     global_buffer
      - .actual_access:  read_only
        .address_space:  global
        .offset:         16
        .size:           8
        .value_kind:     global_buffer
      - .offset:         24
        .size:           4
        .value_kind:     hidden_block_count_x
      - .offset:         28
        .size:           4
        .value_kind:     hidden_block_count_y
      - .offset:         32
        .size:           4
        .value_kind:     hidden_block_count_z
      - .offset:         36
        .size:           2
        .value_kind:     hidden_group_size_x
      - .offset:         38
        .size:           2
        .value_kind:     hidden_group_size_y
      - .offset:         40
        .size:           2
        .value_kind:     hidden_group_size_z
      - .offset:         42
        .size:           2
        .value_kind:     hidden_remainder_x
      - .offset:         44
        .size:           2
        .value_kind:     hidden_remainder_y
      - .offset:         46
        .size:           2
        .value_kind:     hidden_remainder_z
      - .offset:         64
        .size:           8
        .value_kind:     hidden_global_offset_x
      - .offset:         72
        .size:           8
        .value_kind:     hidden_global_offset_y
      - .offset:         80
        .size:           8
        .value_kind:     hidden_global_offset_z
      - .offset:         88
        .size:           2
        .value_kind:     hidden_grid_dims
    .group_segment_fixed_size: 0
    .kernarg_segment_align: 8
    .kernarg_segment_size: 280
    .language:       OpenCL C
    .language_version:
      - 2
      - 0
    .max_flat_workgroup_size: 1024
    .name:           _Z32comm_manual_aosoa_constants_permPK15HIP_vector_typeIfLj2EEPS0_S2_
    .private_segment_fixed_size: 0
    .sgpr_count:     44
    .sgpr_spill_count: 0
    .symbol:         _Z32comm_manual_aosoa_constants_permPK15HIP_vector_typeIfLj2EEPS0_S2_.kd
    .uniform_work_group_size: 1
    .uses_dynamic_stack: false
    .vgpr_count:     96
    .vgpr_spill_count: 0
    .wavefront_size: 64
  - .agpr_count:     0
    .args:
      - .actual_access:  read_only
        .address_space:  global
        .offset:         0
        .size:           8
        .value_kind:     global_buffer
      - .address_space:  global
        .offset:         8
        .size:           8
        .value_kind:     global_buffer
      - .actual_access:  read_only
        .address_space:  global
        .offset:         16
        .size:           8
        .value_kind:     global_buffer
      - .offset:         24
        .size:           4
        .value_kind:     hidden_block_count_x
      - .offset:         28
        .size:           4
        .value_kind:     hidden_block_count_y
      - .offset:         32
        .size:           4
        .value_kind:     hidden_block_count_z
      - .offset:         36
        .size:           2
        .value_kind:     hidden_group_size_x
      - .offset:         38
        .size:           2
        .value_kind:     hidden_group_size_y
      - .offset:         40
        .size:           2
        .value_kind:     hidden_group_size_z
      - .offset:         42
        .size:           2
        .value_kind:     hidden_remainder_x
      - .offset:         44
        .size:           2
        .value_kind:     hidden_remainder_y
      - .offset:         46
        .size:           2
        .value_kind:     hidden_remainder_z
      - .offset:         64
        .size:           8
        .value_kind:     hidden_global_offset_x
      - .offset:         72
        .size:           8
        .value_kind:     hidden_global_offset_y
      - .offset:         80
        .size:           8
        .value_kind:     hidden_global_offset_z
      - .offset:         88
        .size:           2
        .value_kind:     hidden_grid_dims
    .group_segment_fixed_size: 0
    .kernarg_segment_align: 8
    .kernarg_segment_size: 280
    .language:       OpenCL C
    .language_version:
      - 2
      - 0
    .max_flat_workgroup_size: 1024
    .name:           _Z41comm_manual_aosoa_constants_perm_prefetchPK15HIP_vector_typeIfLj2EEPS0_S2_
    .private_segment_fixed_size: 0
    .sgpr_count:     82
    .sgpr_spill_count: 0
    .symbol:         _Z41comm_manual_aosoa_constants_perm_prefetchPK15HIP_vector_typeIfLj2EEPS0_S2_.kd
    .uniform_work_group_size: 1
    .uses_dynamic_stack: false
    .vgpr_count:     86
    .vgpr_spill_count: 0
    .wavefront_size: 64
  - .agpr_count:     0
    .args:
      - .actual_access:  read_only
        .address_space:  global
        .offset:         0
        .size:           8
        .value_kind:     global_buffer
      - .address_space:  global
        .offset:         8
        .size:           8
        .value_kind:     global_buffer
      - .actual_access:  read_only
        .address_space:  global
        .offset:         16
        .size:           8
        .value_kind:     global_buffer
      - .offset:         24
        .size:           4
        .value_kind:     by_value
      - .offset:         32
        .size:           4
        .value_kind:     hidden_block_count_x
      - .offset:         36
        .size:           4
        .value_kind:     hidden_block_count_y
      - .offset:         40
        .size:           4
        .value_kind:     hidden_block_count_z
      - .offset:         44
        .size:           2
        .value_kind:     hidden_group_size_x
      - .offset:         46
        .size:           2
        .value_kind:     hidden_group_size_y
      - .offset:         48
        .size:           2
        .value_kind:     hidden_group_size_z
      - .offset:         50
        .size:           2
        .value_kind:     hidden_remainder_x
      - .offset:         52
        .size:           2
        .value_kind:     hidden_remainder_y
      - .offset:         54
        .size:           2
        .value_kind:     hidden_remainder_z
      - .offset:         72
        .size:           8
        .value_kind:     hidden_global_offset_x
      - .offset:         80
        .size:           8
        .value_kind:     hidden_global_offset_y
      - .offset:         88
        .size:           8
        .value_kind:     hidden_global_offset_z
      - .offset:         96
        .size:           2
        .value_kind:     hidden_grid_dims
    .group_segment_fixed_size: 0
    .kernarg_segment_align: 8
    .kernarg_segment_size: 288
    .language:       OpenCL C
    .language_version:
      - 2
      - 0
    .max_flat_workgroup_size: 1024
    .name:           _Z24comm_manual_aosoa_directPK15HIP_vector_typeIfLj2EEPS0_S2_i
    .private_segment_fixed_size: 0
    .sgpr_count:     38
    .sgpr_spill_count: 0
    .symbol:         _Z24comm_manual_aosoa_directPK15HIP_vector_typeIfLj2EEPS0_S2_i.kd
    .uniform_work_group_size: 1
    .uses_dynamic_stack: false
    .vgpr_count:     42
    .vgpr_spill_count: 0
    .wavefront_size: 64
  - .agpr_count:     0
    .args:
      - .actual_access:  read_only
        .address_space:  global
        .offset:         0
        .size:           8
        .value_kind:     global_buffer
      - .address_space:  global
        .offset:         8
        .size:           8
        .value_kind:     global_buffer
      - .actual_access:  read_only
        .address_space:  global
        .offset:         16
        .size:           8
        .value_kind:     global_buffer
      - .offset:         24
        .size:           4
        .value_kind:     hidden_block_count_x
      - .offset:         28
        .size:           4
        .value_kind:     hidden_block_count_y
      - .offset:         32
        .size:           4
        .value_kind:     hidden_block_count_z
      - .offset:         36
        .size:           2
        .value_kind:     hidden_group_size_x
      - .offset:         38
        .size:           2
        .value_kind:     hidden_group_size_y
      - .offset:         40
        .size:           2
        .value_kind:     hidden_group_size_z
      - .offset:         42
        .size:           2
        .value_kind:     hidden_remainder_x
      - .offset:         44
        .size:           2
        .value_kind:     hidden_remainder_y
      - .offset:         46
        .size:           2
        .value_kind:     hidden_remainder_z
      - .offset:         64
        .size:           8
        .value_kind:     hidden_global_offset_x
      - .offset:         72
        .size:           8
        .value_kind:     hidden_global_offset_y
      - .offset:         80
        .size:           8
        .value_kind:     hidden_global_offset_z
      - .offset:         88
        .size:           2
        .value_kind:     hidden_grid_dims
    .group_segment_fixed_size: 0
    .kernarg_segment_align: 8
    .kernarg_segment_size: 280
    .language:       OpenCL C
    .language_version:
      - 2
      - 0
    .max_flat_workgroup_size: 1024
    .name:           _Z34comm_manual_aosoa_constants_directPK15HIP_vector_typeIfLj2EEPS0_S2_
    .private_segment_fixed_size: 0
    .sgpr_count:     98
    .sgpr_spill_count: 0
    .symbol:         _Z34comm_manual_aosoa_constants_directPK15HIP_vector_typeIfLj2EEPS0_S2_.kd
    .uniform_work_group_size: 1
    .uses_dynamic_stack: false
    .vgpr_count:     100
    .vgpr_spill_count: 0
    .wavefront_size: 64
  - .agpr_count:     0
    .args:
      - .actual_access:  read_only
        .address_space:  global
        .offset:         0
        .size:           8
        .value_kind:     global_buffer
      - .address_space:  global
        .offset:         8
        .size:           8
        .value_kind:     global_buffer
      - .actual_access:  read_only
        .address_space:  global
        .offset:         16
        .size:           8
        .value_kind:     global_buffer
      - .offset:         24
        .size:           4
        .value_kind:     hidden_block_count_x
      - .offset:         28
        .size:           4
        .value_kind:     hidden_block_count_y
      - .offset:         32
        .size:           4
        .value_kind:     hidden_block_count_z
      - .offset:         36
        .size:           2
        .value_kind:     hidden_group_size_x
      - .offset:         38
        .size:           2
        .value_kind:     hidden_group_size_y
      - .offset:         40
        .size:           2
        .value_kind:     hidden_group_size_z
      - .offset:         42
        .size:           2
        .value_kind:     hidden_remainder_x
      - .offset:         44
        .size:           2
        .value_kind:     hidden_remainder_y
      - .offset:         46
        .size:           2
        .value_kind:     hidden_remainder_z
      - .offset:         64
        .size:           8
        .value_kind:     hidden_global_offset_x
      - .offset:         72
        .size:           8
        .value_kind:     hidden_global_offset_y
      - .offset:         80
        .size:           8
        .value_kind:     hidden_global_offset_z
      - .offset:         88
        .size:           2
        .value_kind:     hidden_grid_dims
    .group_segment_fixed_size: 0
    .kernarg_segment_align: 8
    .kernarg_segment_size: 280
    .language:       OpenCL C
    .language_version:
      - 2
      - 0
    .max_flat_workgroup_size: 1024
    .name:           _Z43comm_manual_aosoa_constants_direct_prefetchPK15HIP_vector_typeIfLj2EEPS0_S2_
    .private_segment_fixed_size: 0
    .sgpr_count:     98
    .sgpr_spill_count: 0
    .symbol:         _Z43comm_manual_aosoa_constants_direct_prefetchPK15HIP_vector_typeIfLj2EEPS0_S2_.kd
    .uniform_work_group_size: 1
    .uses_dynamic_stack: false
    .vgpr_count:     100
    .vgpr_spill_count: 0
    .wavefront_size: 64
  - .agpr_count:     0
    .args:
      - .actual_access:  read_only
        .address_space:  global
        .offset:         0
        .size:           8
        .value_kind:     global_buffer
      - .address_space:  global
        .offset:         8
        .size:           8
        .value_kind:     global_buffer
      - .actual_access:  read_only
        .address_space:  global
        .offset:         16
        .size:           8
        .value_kind:     global_buffer
      - .offset:         24
        .size:           4
        .value_kind:     hidden_block_count_x
      - .offset:         28
        .size:           4
        .value_kind:     hidden_block_count_y
      - .offset:         32
        .size:           4
        .value_kind:     hidden_block_count_z
      - .offset:         36
        .size:           2
        .value_kind:     hidden_group_size_x
      - .offset:         38
        .size:           2
        .value_kind:     hidden_group_size_y
      - .offset:         40
        .size:           2
        .value_kind:     hidden_group_size_z
      - .offset:         42
        .size:           2
        .value_kind:     hidden_remainder_x
      - .offset:         44
        .size:           2
        .value_kind:     hidden_remainder_y
      - .offset:         46
        .size:           2
        .value_kind:     hidden_remainder_z
      - .offset:         64
        .size:           8
        .value_kind:     hidden_global_offset_x
      - .offset:         72
        .size:           8
        .value_kind:     hidden_global_offset_y
      - .offset:         80
        .size:           8
        .value_kind:     hidden_global_offset_z
      - .offset:         88
        .size:           2
        .value_kind:     hidden_grid_dims
    .group_segment_fixed_size: 0
    .kernarg_segment_align: 8
    .kernarg_segment_size: 280
    .language:       OpenCL C
    .language_version:
      - 2
      - 0
    .max_flat_workgroup_size: 1024
    .name:           _Z39comm_manual_aosoa_constants_direct_permPK15HIP_vector_typeIfLj2EEPS0_S2_
    .private_segment_fixed_size: 0
    .sgpr_count:     44
    .sgpr_spill_count: 0
    .symbol:         _Z39comm_manual_aosoa_constants_direct_permPK15HIP_vector_typeIfLj2EEPS0_S2_.kd
    .uniform_work_group_size: 1
    .uses_dynamic_stack: false
    .vgpr_count:     96
    .vgpr_spill_count: 0
    .wavefront_size: 64
  - .agpr_count:     0
    .args:
      - .actual_access:  read_only
        .address_space:  global
        .offset:         0
        .size:           8
        .value_kind:     global_buffer
      - .address_space:  global
        .offset:         8
        .size:           8
        .value_kind:     global_buffer
      - .actual_access:  read_only
        .address_space:  global
        .offset:         16
        .size:           8
        .value_kind:     global_buffer
      - .offset:         24
        .size:           4
        .value_kind:     by_value
    .group_segment_fixed_size: 1972
    .kernarg_segment_align: 8
    .kernarg_segment_size: 28
    .language:       OpenCL C
    .language_version:
      - 2
      - 0
    .max_flat_workgroup_size: 1024
    .name:           _Z16final_gpu_kernelPK15HIP_vector_typeIfLj2EEPS0_S2_i
    .private_segment_fixed_size: 0
    .sgpr_count:     14
    .sgpr_spill_count: 0
    .symbol:         _Z16final_gpu_kernelPK15HIP_vector_typeIfLj2EEPS0_S2_i.kd
    .uniform_work_group_size: 1
    .uses_dynamic_stack: false
    .vgpr_count:     56
    .vgpr_spill_count: 0
    .wavefront_size: 64
amdhsa.target:   amdgcn-amd-amdhsa--gfx950
amdhsa.version:
  - 1
  - 2
...

	.end_amdgpu_metadata
